;; amdgpu-corpus repo=ROCm/vllm kind=compiled arch=gfx942 opt=O3
	.text
	.amdgcn_target "amdgcn-amd-amdhsa--gfx942"
	.amdhsa_code_object_version 6
	.section	.text._ZN4vllm24act_and_mul_quant_kernelIfTnPFT_RKS1_EXadL_ZNS_11silu_kernelIfEES1_S3_EEN3c1013Float8_e4m3fnEEEvPT1_PS2_PKfi,"axG",@progbits,_ZN4vllm24act_and_mul_quant_kernelIfTnPFT_RKS1_EXadL_ZNS_11silu_kernelIfEES1_S3_EEN3c1013Float8_e4m3fnEEEvPT1_PS2_PKfi,comdat
	.protected	_ZN4vllm24act_and_mul_quant_kernelIfTnPFT_RKS1_EXadL_ZNS_11silu_kernelIfEES1_S3_EEN3c1013Float8_e4m3fnEEEvPT1_PS2_PKfi ; -- Begin function _ZN4vllm24act_and_mul_quant_kernelIfTnPFT_RKS1_EXadL_ZNS_11silu_kernelIfEES1_S3_EEN3c1013Float8_e4m3fnEEEvPT1_PS2_PKfi
	.globl	_ZN4vllm24act_and_mul_quant_kernelIfTnPFT_RKS1_EXadL_ZNS_11silu_kernelIfEES1_S3_EEN3c1013Float8_e4m3fnEEEvPT1_PS2_PKfi
	.p2align	8
	.type	_ZN4vllm24act_and_mul_quant_kernelIfTnPFT_RKS1_EXadL_ZNS_11silu_kernelIfEES1_S3_EEN3c1013Float8_e4m3fnEEEvPT1_PS2_PKfi,@function
_ZN4vllm24act_and_mul_quant_kernelIfTnPFT_RKS1_EXadL_ZNS_11silu_kernelIfEES1_S3_EEN3c1013Float8_e4m3fnEEEvPT1_PS2_PKfi: ; @_ZN4vllm24act_and_mul_quant_kernelIfTnPFT_RKS1_EXadL_ZNS_11silu_kernelIfEES1_S3_EEN3c1013Float8_e4m3fnEEEvPT1_PS2_PKfi
; %bb.0:
	s_mov_b32 s4, s3
	s_load_dword s3, s[0:1], 0x24
	s_load_dword s28, s[0:1], 0x18
	s_add_u32 s12, s0, 32
	s_addc_u32 s13, s1, 0
	s_load_dwordx4 s[8:11], s[0:1], 0x0
	s_waitcnt lgkmcnt(0)
	s_abs_i32 s5, s3
	v_cvt_f32_u32_e32 v1, s5
	s_sub_i32 s7, 0, s5
	s_add_i32 s6, s28, s3
	s_add_i32 s6, s6, -1
	v_rcp_iflag_f32_e32 v1, v1
	s_xor_b32 s3, s6, s3
	s_abs_i32 s6, s6
	s_ashr_i32 s3, s3, 31
	v_mul_f32_e32 v1, 0x4f7ffffe, v1
	v_cvt_u32_f32_e32 v1, v1
	s_nop 0
	v_readfirstlane_b32 s14, v1
	s_mul_i32 s7, s7, s14
	s_mul_hi_u32 s7, s14, s7
	s_add_i32 s14, s14, s7
	s_mul_hi_u32 s7, s6, s14
	s_mul_i32 s14, s7, s5
	s_sub_i32 s6, s6, s14
	s_add_i32 s14, s7, 1
	s_sub_i32 s15, s6, s5
	s_cmp_ge_u32 s6, s5
	s_cselect_b32 s7, s14, s7
	s_cselect_b32 s6, s15, s6
	s_add_i32 s14, s7, 1
	s_cmp_ge_u32 s6, s5
	s_cselect_b32 s5, s14, s7
	s_xor_b32 s5, s5, s3
	s_sub_i32 s5, s5, s3
	s_and_b32 s3, s5, 3
	s_cmp_eq_u32 s3, 0
	s_mov_b32 s3, 0
	s_cbranch_scc1 .LBB0_2
; %bb.1:
	s_ashr_i32 s6, s5, 31
	s_lshr_b32 s6, s6, 30
	s_add_i32 s5, s5, s6
	s_and_b32 s5, s5, -4
	s_add_i32 s5, s5, 4
.LBB0_2:
	s_mul_i32 s14, s5, s4
	s_add_i32 s4, s14, s5
	s_min_i32 s4, s4, s28
	s_abs_i32 s5, s4
	v_cvt_f32_u32_e32 v1, s5
	s_load_dwordx2 s[0:1], s[0:1], 0x10
	s_ashr_i32 s29, s28, 31
	s_mul_hi_u32 s7, s28, s2
	v_rcp_iflag_f32_e32 v1, v1
	s_mul_i32 s15, s29, s2
	s_add_i32 s7, s7, s15
	s_sub_i32 s15, 0, s5
	v_mul_f32_e32 v1, 0x4f7ffffe, v1
	v_cvt_u32_f32_e32 v1, v1
	s_waitcnt lgkmcnt(0)
	s_load_dword s16, s[0:1], 0x0
	s_mul_i32 s6, s28, s2
	v_readfirstlane_b32 s0, v1
	s_mul_i32 s15, s15, s0
	s_mul_hi_u32 s1, s0, s15
	s_add_i32 s0, s0, s1
	s_lshr_b32 s0, s0, 30
	s_mul_i32 s0, s0, s5
	s_sub_i32 s0, 4, s0
	s_sub_i32 s1, s0, s5
	s_cmp_ge_u32 s0, s5
	s_cselect_b32 s0, s1, s0
	s_sub_i32 s1, s0, s5
	s_cmp_ge_u32 s0, s5
	s_cselect_b32 s5, s1, s0
	s_cmp_eq_u32 s5, 0
	s_cselect_b64 s[0:1], -1, 0
	v_cndmask_b32_e64 v11, 0, 1, s[0:1]
	s_waitcnt lgkmcnt(0)
	v_div_scale_f32 v1, s[0:1], s16, s16, 1.0
	v_rcp_f32_e32 v2, v1
	s_ashr_i32 s15, s14, 31
	s_lshr_b32 s0, s15, 30
	s_add_i32 s14, s14, s0
	v_fma_f32 v3, -v1, v2, 1.0
	v_fmac_f32_e32 v2, v3, v2
	v_div_scale_f32 v3, vcc, 1.0, s16, 1.0
	v_mul_f32_e32 v4, v3, v2
	v_fma_f32 v5, -v1, v4, v3
	v_fmac_f32_e32 v4, v5, v2
	s_ashr_i32 s18, s14, 2
	v_fma_f32 v1, -v1, v4, v3
	v_div_fmas_f32 v1, v1, v2, v4
	v_add_u32_e32 v18, s18, v0
	v_div_fixup_f32 v10, v1, s16, 1.0
	v_cmp_lt_i32_e32 vcc, v18, v11
	s_and_saveexec_b64 s[0:1], vcc
	s_cbranch_execz .LBB0_29
; %bb.3:
	s_load_dword s16, s[12:13], 0xc
	v_mov_b32_e32 v13, 0
	s_ashr_i32 s19, s18, 31
	v_mov_b32_e32 v1, v13
	v_lshl_add_u64 v[2:3], s[18:19], 0, v[0:1]
	s_lshl_b64 s[18:19], s[2:3], 3
	s_or_b32 s18, s18, 4
	s_mul_i32 s20, s18, s29
	s_mul_hi_u32 s21, s18, s28
	s_waitcnt lgkmcnt(0)
	s_and_b32 s30, s16, 0xffff
	s_add_i32 s20, s21, s20
	s_mul_i32 s19, s19, s28
	s_lshl_b64 s[14:15], s[6:7], 3
	s_lshl_b32 s16, s30, 4
	s_add_i32 s19, s20, s19
	s_add_u32 s20, s8, s6
	s_mov_b32 s17, 0
	s_addc_u32 s21, s9, s7
	v_lshl_add_u64 v[14:15], v[2:3], 4, s[10:11]
	s_mul_i32 s18, s18, s28
	v_lshl_add_u64 v[16:17], v[2:3], 3, s[20:21]
	s_lshl_b32 s20, s30, 3
	s_mov_b32 s21, s17
	s_mov_b64 s[22:23], 0
	s_mov_b32 s31, 0xbfb8aa3b
	s_mov_b32 s33, 0x42ce8ed0
	;; [unrolled: 1-line block ×3, first 2 shown]
	v_mov_b32_e32 v1, 0x7f800000
	s_mov_b32 s35, 0x43f00000
	s_mov_b32 s36, 0x3c7fffff
	;; [unrolled: 1-line block ×4, first 2 shown]
	s_movk_i32 s39, 0x80
	s_movk_i32 s40, 0xff
	s_branch .LBB0_6
.LBB0_4:                                ;   in Loop: Header=BB0_6 Depth=1
	s_or_b64 exec, exec, s[26:27]
.LBB0_5:                                ;   in Loop: Header=BB0_6 Depth=1
	s_or_b64 exec, exec, s[24:25]
	v_and_b32_sdwa v4, v4, s39 dst_sel:DWORD dst_unused:UNUSED_PAD src0_sel:BYTE_3 src1_sel:DWORD
	v_and_b32_sdwa v3, v3, s39 dst_sel:DWORD dst_unused:UNUSED_PAD src0_sel:BYTE_3 src1_sel:DWORD
	v_and_or_b32 v4, v7, s40, v4
	v_and_b32_sdwa v2, v2, s39 dst_sel:DWORD dst_unused:UNUSED_PAD src0_sel:BYTE_3 src1_sel:DWORD
	v_lshlrev_b32_e32 v8, 24, v8
	v_and_b32_e32 v5, 0x80000000, v5
	v_lshlrev_b32_e32 v4, 16, v4
	v_and_or_b32 v3, v12, s40, v3
	v_or3_b32 v4, v5, v8, v4
	v_lshlrev_b32_e32 v3, 8, v3
	v_and_or_b32 v2, v6, s40, v2
	v_add_u32_e32 v18, s30, v18
	v_or3_b32 v12, v4, v3, v2
	v_cmp_ge_i32_e32 vcc, v18, v11
	global_store_dwordx2 v[16:17], v[12:13], off
	v_lshl_add_u64 v[14:15], v[14:15], 0, s[16:17]
	s_or_b64 s[22:23], vcc, s[22:23]
	v_lshl_add_u64 v[16:17], v[16:17], 0, s[20:21]
	s_andn2_b64 exec, exec, s[22:23]
	s_cbranch_execz .LBB0_29
.LBB0_6:                                ; =>This Inner Loop Header: Depth=1
	v_lshl_add_u64 v[2:3], v[14:15], 0, s[14:15]
	global_load_dwordx4 v[2:5], v[2:3], off
	v_lshl_add_u64 v[6:7], v[14:15], 0, s[18:19]
	global_load_dwordx4 v[6:9], v[6:7], off
	s_waitcnt vmcnt(1)
	v_mul_f32_e32 v12, 0xbfb8aa3b, v2
	v_fma_f32 v19, v2, s31, -v12
	v_rndne_f32_e32 v20, v12
	v_fmac_f32_e32 v19, 0xb2a5705f, v2
	v_sub_f32_e32 v12, v12, v20
	v_add_f32_e32 v12, v12, v19
	v_cvt_i32_f32_e32 v20, v20
	v_exp_f32_e32 v12, v12
	v_cmp_nlt_f32_e32 vcc, s33, v2
	v_ldexp_f32 v12, v12, v20
	s_nop 0
	v_cndmask_b32_e32 v12, 0, v12, vcc
	v_cmp_ngt_f32_e32 vcc, s34, v2
	s_nop 1
	v_cndmask_b32_e32 v12, v1, v12, vcc
	v_add_f32_e32 v19, 1.0, v12
	v_div_scale_f32 v20, s[24:25], v19, v19, v2
	v_rcp_f32_e32 v21, v20
	v_div_scale_f32 v22, vcc, v2, v19, v2
	v_mov_b32_e32 v12, 0x7f
	v_fma_f32 v23, -v20, v21, 1.0
	v_fmac_f32_e32 v21, v23, v21
	v_mul_f32_e32 v23, v22, v21
	v_fma_f32 v24, -v20, v23, v22
	v_fmac_f32_e32 v23, v24, v21
	v_fma_f32 v20, -v20, v23, v22
	v_div_fmas_f32 v20, v20, v21, v23
	v_div_fixup_f32 v2, v20, v19, v2
	s_waitcnt vmcnt(0)
	v_mul_f32_e32 v2, v6, v2
	v_mul_f32_e32 v2, v10, v2
	v_min_f32_e32 v2, 0x43e00000, v2
	v_max_f32_e32 v2, 0xc3e00000, v2
	v_and_b32_e32 v19, 0x7fffffff, v2
	v_cmp_gt_u32_e32 vcc, s35, v19
	v_mov_b32_e32 v6, 0x7f
	s_and_saveexec_b64 s[24:25], vcc
	s_cbranch_execz .LBB0_12
; %bb.7:                                ;   in Loop: Header=BB0_6 Depth=1
	v_cmp_lt_u32_e32 vcc, s36, v19
                                        ; implicit-def: $vgpr6
	s_and_saveexec_b64 s[26:27], vcc
	s_xor_b64 s[26:27], exec, s[26:27]
; %bb.8:                                ;   in Loop: Header=BB0_6 Depth=1
	v_bfe_u32 v6, v2, 20, 1
	v_add3_u32 v6, v2, v6, s37
	v_lshrrev_b32_e32 v6, 20, v6
; %bb.9:                                ;   in Loop: Header=BB0_6 Depth=1
	s_andn2_saveexec_b64 s[26:27], s[26:27]
; %bb.10:                               ;   in Loop: Header=BB0_6 Depth=1
	v_add_f32_e64 v6, |v2|, s38
; %bb.11:                               ;   in Loop: Header=BB0_6 Depth=1
	s_or_b64 exec, exec, s[26:27]
.LBB0_12:                               ;   in Loop: Header=BB0_6 Depth=1
	s_or_b64 exec, exec, s[24:25]
	v_mul_f32_e32 v19, 0xbfb8aa3b, v3
	v_rndne_f32_e32 v20, v19
	v_sub_f32_e32 v21, v19, v20
	v_fma_f32 v19, v3, s31, -v19
	v_fmac_f32_e32 v19, 0xb2a5705f, v3
	v_add_f32_e32 v19, v21, v19
	v_cvt_i32_f32_e32 v20, v20
	v_exp_f32_e32 v19, v19
	v_cmp_nlt_f32_e32 vcc, s33, v3
	v_ldexp_f32 v19, v19, v20
	s_nop 0
	v_cndmask_b32_e32 v19, 0, v19, vcc
	v_cmp_ngt_f32_e32 vcc, s34, v3
	s_nop 1
	v_cndmask_b32_e32 v19, v1, v19, vcc
	v_add_f32_e32 v19, 1.0, v19
	v_div_scale_f32 v20, s[24:25], v19, v19, v3
	v_rcp_f32_e32 v21, v20
	s_nop 0
	v_fma_f32 v22, -v20, v21, 1.0
	v_fmac_f32_e32 v21, v22, v21
	v_div_scale_f32 v22, vcc, v3, v19, v3
	v_mul_f32_e32 v23, v22, v21
	v_fma_f32 v24, -v20, v23, v22
	v_fmac_f32_e32 v23, v24, v21
	v_fma_f32 v20, -v20, v23, v22
	v_div_fmas_f32 v20, v20, v21, v23
	v_div_fixup_f32 v3, v20, v19, v3
	v_mul_f32_e32 v3, v7, v3
	v_mul_f32_e32 v3, v10, v3
	v_min_f32_e32 v3, 0x43e00000, v3
	v_max_f32_e32 v3, 0xc3e00000, v3
	v_and_b32_e32 v7, 0x7fffffff, v3
	v_cmp_gt_u32_e32 vcc, s35, v7
	s_and_saveexec_b64 s[24:25], vcc
	s_cbranch_execz .LBB0_18
; %bb.13:                               ;   in Loop: Header=BB0_6 Depth=1
	v_cmp_lt_u32_e32 vcc, s36, v7
                                        ; implicit-def: $vgpr12
	s_and_saveexec_b64 s[26:27], vcc
	s_xor_b64 s[26:27], exec, s[26:27]
; %bb.14:                               ;   in Loop: Header=BB0_6 Depth=1
	v_bfe_u32 v7, v3, 20, 1
	v_add3_u32 v7, v3, v7, s37
	v_lshrrev_b32_e32 v12, 20, v7
; %bb.15:                               ;   in Loop: Header=BB0_6 Depth=1
	s_andn2_saveexec_b64 s[26:27], s[26:27]
; %bb.16:                               ;   in Loop: Header=BB0_6 Depth=1
	v_add_f32_e64 v12, |v3|, s38
; %bb.17:                               ;   in Loop: Header=BB0_6 Depth=1
	s_or_b64 exec, exec, s[26:27]
.LBB0_18:                               ;   in Loop: Header=BB0_6 Depth=1
	s_or_b64 exec, exec, s[24:25]
	v_mul_f32_e32 v7, 0xbfb8aa3b, v4
	v_rndne_f32_e32 v19, v7
	v_sub_f32_e32 v20, v7, v19
	v_fma_f32 v7, v4, s31, -v7
	v_fmac_f32_e32 v7, 0xb2a5705f, v4
	v_add_f32_e32 v7, v20, v7
	v_cvt_i32_f32_e32 v19, v19
	v_exp_f32_e32 v7, v7
	v_cmp_nlt_f32_e32 vcc, s33, v4
	v_ldexp_f32 v7, v7, v19
	s_nop 0
	v_cndmask_b32_e32 v7, 0, v7, vcc
	v_cmp_ngt_f32_e32 vcc, s34, v4
	s_nop 1
	v_cndmask_b32_e32 v7, v1, v7, vcc
	v_add_f32_e32 v7, 1.0, v7
	v_div_scale_f32 v19, s[24:25], v7, v7, v4
	v_rcp_f32_e32 v20, v19
	s_nop 0
	v_fma_f32 v21, -v19, v20, 1.0
	v_fmac_f32_e32 v20, v21, v20
	v_div_scale_f32 v21, vcc, v4, v7, v4
	v_mul_f32_e32 v22, v21, v20
	v_fma_f32 v23, -v19, v22, v21
	v_fmac_f32_e32 v22, v23, v20
	v_fma_f32 v19, -v19, v22, v21
	v_div_fmas_f32 v19, v19, v20, v22
	v_div_fixup_f32 v4, v19, v7, v4
	v_mul_f32_e32 v4, v8, v4
	v_mul_f32_e32 v4, v10, v4
	v_min_f32_e32 v4, 0x43e00000, v4
	v_max_f32_e32 v4, 0xc3e00000, v4
	v_and_b32_e32 v19, 0x7fffffff, v4
	v_cmp_gt_u32_e32 vcc, s35, v19
	v_mov_b32_e32 v8, 0x7f
	v_mov_b32_e32 v7, 0x7f
	s_and_saveexec_b64 s[24:25], vcc
	s_cbranch_execz .LBB0_24
; %bb.19:                               ;   in Loop: Header=BB0_6 Depth=1
	v_cmp_lt_u32_e32 vcc, s36, v19
                                        ; implicit-def: $vgpr7
	s_and_saveexec_b64 s[26:27], vcc
	s_xor_b64 s[26:27], exec, s[26:27]
; %bb.20:                               ;   in Loop: Header=BB0_6 Depth=1
	v_bfe_u32 v7, v4, 20, 1
	v_add3_u32 v7, v4, v7, s37
	v_lshrrev_b32_e32 v7, 20, v7
; %bb.21:                               ;   in Loop: Header=BB0_6 Depth=1
	s_andn2_saveexec_b64 s[26:27], s[26:27]
; %bb.22:                               ;   in Loop: Header=BB0_6 Depth=1
	v_add_f32_e64 v7, |v4|, s38
; %bb.23:                               ;   in Loop: Header=BB0_6 Depth=1
	s_or_b64 exec, exec, s[26:27]
.LBB0_24:                               ;   in Loop: Header=BB0_6 Depth=1
	s_or_b64 exec, exec, s[24:25]
	v_mul_f32_e32 v19, 0xbfb8aa3b, v5
	v_rndne_f32_e32 v20, v19
	v_sub_f32_e32 v21, v19, v20
	v_fma_f32 v19, v5, s31, -v19
	v_fmac_f32_e32 v19, 0xb2a5705f, v5
	v_add_f32_e32 v19, v21, v19
	v_cvt_i32_f32_e32 v20, v20
	v_exp_f32_e32 v19, v19
	v_cmp_nlt_f32_e32 vcc, s33, v5
	v_ldexp_f32 v19, v19, v20
	s_nop 0
	v_cndmask_b32_e32 v19, 0, v19, vcc
	v_cmp_ngt_f32_e32 vcc, s34, v5
	s_nop 1
	v_cndmask_b32_e32 v19, v1, v19, vcc
	v_add_f32_e32 v19, 1.0, v19
	v_div_scale_f32 v20, s[24:25], v19, v19, v5
	v_rcp_f32_e32 v21, v20
	s_nop 0
	v_fma_f32 v22, -v20, v21, 1.0
	v_fmac_f32_e32 v21, v22, v21
	v_div_scale_f32 v22, vcc, v5, v19, v5
	v_mul_f32_e32 v23, v22, v21
	v_fma_f32 v24, -v20, v23, v22
	v_fmac_f32_e32 v23, v24, v21
	v_fma_f32 v20, -v20, v23, v22
	v_div_fmas_f32 v20, v20, v21, v23
	v_div_fixup_f32 v5, v20, v19, v5
	v_mul_f32_e32 v5, v9, v5
	v_mul_f32_e32 v5, v10, v5
	v_min_f32_e32 v5, 0x43e00000, v5
	v_max_f32_e32 v5, 0xc3e00000, v5
	v_and_b32_e32 v9, 0x7fffffff, v5
	v_cmp_gt_u32_e32 vcc, s35, v9
	s_and_saveexec_b64 s[24:25], vcc
	s_cbranch_execz .LBB0_5
; %bb.25:                               ;   in Loop: Header=BB0_6 Depth=1
	v_cmp_lt_u32_e32 vcc, s36, v9
                                        ; implicit-def: $vgpr8
	s_and_saveexec_b64 s[26:27], vcc
	s_xor_b64 s[26:27], exec, s[26:27]
; %bb.26:                               ;   in Loop: Header=BB0_6 Depth=1
	v_bfe_u32 v8, v5, 20, 1
	v_add3_u32 v8, v5, v8, s37
	v_lshrrev_b32_e32 v8, 20, v8
; %bb.27:                               ;   in Loop: Header=BB0_6 Depth=1
	s_andn2_saveexec_b64 s[26:27], s[26:27]
	s_cbranch_execz .LBB0_4
; %bb.28:                               ;   in Loop: Header=BB0_6 Depth=1
	v_add_f32_e64 v8, |v5|, s38
	s_branch .LBB0_4
.LBB0_29:
	s_or_b64 exec, exec, s[0:1]
	s_sub_i32 s0, 4, s5
	s_cmp_gt_i32 s4, s0
	s_cbranch_scc0 .LBB0_50
; %bb.30:
	v_add_u32_e32 v0, s0, v0
	v_cmp_gt_i32_e32 vcc, s4, v0
	s_and_saveexec_b64 s[0:1], vcc
	s_cbranch_execz .LBB0_50
; %bb.31:
	s_load_dword s0, s[12:13], 0xc
	s_mov_b32 s13, 0
	v_mov_b32_e32 v1, 0
	s_ashr_i32 s5, s4, 31
	v_mov_b32_e32 v2, s5
	s_waitcnt lgkmcnt(0)
	s_and_b32 s12, s0, 0xffff
	v_lshl_add_u64 v[4:5], s[12:13], 0, v[0:1]
	v_cmp_gt_i64_e32 vcc, s[4:5], v[4:5]
	v_mov_b32_e32 v3, s13
	v_cmp_gt_u16_e64 s[0:1], s0, 1
	v_cndmask_b32_e32 v6, v5, v2, vcc
	v_mov_b32_e32 v2, s4
	v_cndmask_b32_e32 v7, v4, v2, vcc
	v_cndmask_b32_e64 v2, 0, 1, vcc
	v_lshl_add_u64 v[4:5], v[4:5], 0, v[2:3]
	v_sub_co_u32_e32 v8, vcc, v7, v4
	s_and_b64 s[0:1], s[0:1], exec
	s_nop 0
	v_subb_co_u32_e32 v5, vcc, v6, v5, vcc
	v_mov_b32_e32 v4, v1
	s_cselect_b32 s0, 0, 0
	s_cselect_b32 s16, s12, 1
	v_cmp_ne_u64_e32 vcc, 0, v[4:5]
                                        ; implicit-def: $vgpr6_vgpr7
	s_and_saveexec_b64 s[14:15], vcc
	s_xor_b64 s[14:15], exec, s[14:15]
	s_cbranch_execz .LBB0_33
; %bb.32:
	v_cvt_f32_u32_e32 v4, s16
	v_mov_b32_e32 v6, 0x4f800000
	s_sub_u32 s1, 0, s16
	s_subb_u32 s0, 0, s0
	v_fmac_f32_e32 v4, 0, v6
	v_rcp_f32_e32 v4, v4
	s_nop 0
	v_mul_f32_e32 v4, 0x5f7ffffc, v4
	v_mul_f32_e32 v6, 0x2f800000, v4
	v_trunc_f32_e32 v6, v6
	v_fmamk_f32 v4, v6, 0xcf800000, v4
	v_cvt_u32_f32_e32 v9, v6
	v_cvt_u32_f32_e32 v4, v4
	v_mul_lo_u32 v6, s1, v9
	v_mul_hi_u32 v11, s1, v4
	v_mul_lo_u32 v7, s0, v4
	v_add_u32_e32 v11, v11, v6
	v_mul_lo_u32 v14, s1, v4
	v_add_u32_e32 v11, v11, v7
	v_mul_hi_u32 v6, v4, v14
	v_mul_hi_u32 v13, v4, v11
	v_mul_lo_u32 v12, v4, v11
	v_mov_b32_e32 v7, v1
	v_lshl_add_u64 v[6:7], v[6:7], 0, v[12:13]
	v_mul_hi_u32 v13, v9, v14
	v_mul_lo_u32 v14, v9, v14
	v_add_co_u32_e32 v6, vcc, v6, v14
	v_mul_hi_u32 v12, v9, v11
	s_nop 0
	v_addc_co_u32_e32 v6, vcc, v7, v13, vcc
	v_mov_b32_e32 v7, v1
	s_nop 0
	v_addc_co_u32_e32 v13, vcc, 0, v12, vcc
	v_mul_lo_u32 v12, v9, v11
	v_lshl_add_u64 v[6:7], v[6:7], 0, v[12:13]
	v_add_co_u32_e32 v4, vcc, v4, v6
	v_mul_lo_u32 v12, s1, v4
	s_nop 0
	v_addc_co_u32_e32 v9, vcc, v9, v7, vcc
	v_mul_lo_u32 v6, s1, v9
	v_mul_hi_u32 v7, s1, v4
	v_add_u32_e32 v6, v7, v6
	v_mul_lo_u32 v7, s0, v4
	v_add_u32_e32 v11, v6, v7
	v_mul_hi_u32 v15, v9, v12
	v_mul_lo_u32 v16, v9, v12
	v_mul_hi_u32 v7, v4, v11
	v_mul_lo_u32 v6, v4, v11
	v_mul_hi_u32 v12, v4, v12
	v_mov_b32_e32 v13, v1
	v_lshl_add_u64 v[6:7], v[12:13], 0, v[6:7]
	v_add_co_u32_e32 v6, vcc, v6, v16
	v_mul_hi_u32 v14, v9, v11
	s_nop 0
	v_addc_co_u32_e32 v6, vcc, v7, v15, vcc
	v_mul_lo_u32 v12, v9, v11
	s_nop 0
	v_addc_co_u32_e32 v13, vcc, 0, v14, vcc
	v_mov_b32_e32 v7, v1
	v_lshl_add_u64 v[6:7], v[6:7], 0, v[12:13]
	v_add_co_u32_e32 v4, vcc, v4, v6
	v_mul_hi_u32 v12, v8, v4
	s_nop 0
	v_addc_co_u32_e32 v9, vcc, v9, v7, vcc
	v_mad_u64_u32 v[6:7], s[0:1], v8, v9, 0
	v_mov_b32_e32 v13, v1
	v_lshl_add_u64 v[6:7], v[12:13], 0, v[6:7]
	v_mad_u64_u32 v[14:15], s[0:1], v5, v4, 0
	v_add_co_u32_e32 v4, vcc, v6, v14
	v_mad_u64_u32 v[12:13], s[0:1], v5, v9, 0
	s_nop 0
	v_addc_co_u32_e32 v6, vcc, v7, v15, vcc
	v_mov_b32_e32 v7, v1
	s_nop 0
	v_addc_co_u32_e32 v13, vcc, 0, v13, vcc
	v_lshl_add_u64 v[6:7], v[6:7], 0, v[12:13]
	v_mad_u64_u32 v[12:13], s[0:1], s16, v6, 0
	v_mov_b32_e32 v4, v13
	v_mad_u64_u32 v[14:15], s[0:1], s16, v7, v[4:5]
	v_sub_co_u32_e32 v11, vcc, v8, v12
	v_lshl_add_u64 v[8:9], v[6:7], 0, 1
	s_nop 0
	v_subb_co_u32_e32 v12, vcc, v5, v14, vcc
	v_subrev_co_u32_e32 v4, vcc, s16, v11
	v_cmp_le_u32_e64 s[0:1], s16, v11
	s_nop 0
	v_subbrev_co_u32_e32 v5, vcc, 0, v12, vcc
	v_cmp_le_u32_e32 vcc, s16, v4
	s_nop 1
	v_cndmask_b32_e64 v4, 0, -1, vcc
	v_cmp_eq_u32_e32 vcc, 0, v5
	s_nop 1
	v_cndmask_b32_e32 v13, -1, v4, vcc
	v_lshl_add_u64 v[4:5], v[6:7], 0, 2
	v_cmp_ne_u32_e32 vcc, 0, v13
	s_nop 1
	v_cndmask_b32_e32 v5, v9, v5, vcc
	v_cndmask_b32_e64 v9, 0, -1, s[0:1]
	v_cmp_eq_u32_e64 s[0:1], 0, v12
	v_cndmask_b32_e32 v4, v8, v4, vcc
                                        ; implicit-def: $vgpr8
	s_nop 0
	v_cndmask_b32_e64 v9, -1, v9, s[0:1]
	v_cmp_ne_u32_e64 s[0:1], 0, v9
	s_nop 1
	v_cndmask_b32_e64 v7, v7, v5, s[0:1]
	v_cndmask_b32_e64 v6, v6, v4, s[0:1]
.LBB0_33:
	s_andn2_saveexec_b64 s[0:1], s[14:15]
	s_cbranch_execz .LBB0_35
; %bb.34:
	v_cvt_f32_u32_e32 v4, s16
	s_sub_i32 s14, 0, s16
	v_rcp_iflag_f32_e32 v4, v4
	s_nop 0
	v_mul_f32_e32 v4, 0x4f7ffffe, v4
	v_cvt_u32_f32_e32 v4, v4
	v_mul_lo_u32 v5, s14, v4
	v_mul_hi_u32 v5, v4, v5
	v_add_u32_e32 v4, v4, v5
	v_mul_hi_u32 v4, v8, v4
	v_mul_lo_u32 v5, v4, s16
	v_sub_u32_e32 v5, v8, v5
	v_add_u32_e32 v6, 1, v4
	v_subrev_u32_e32 v7, s16, v5
	v_cmp_le_u32_e32 vcc, s16, v5
	s_nop 1
	v_cndmask_b32_e32 v5, v5, v7, vcc
	v_cndmask_b32_e32 v4, v4, v6, vcc
	v_add_u32_e32 v6, 1, v4
	v_cmp_le_u32_e32 vcc, s16, v5
	v_mov_b32_e32 v7, 0
	s_nop 0
	v_cndmask_b32_e32 v6, v4, v6, vcc
.LBB0_35:
	s_or_b64 exec, exec, s[0:1]
	v_lshl_add_u64 v[2:3], v[6:7], 0, v[2:3]
	v_lshl_add_u64 v[2:3], v[2:3], 0, 1
	v_cmp_gt_u64_e32 vcc, 2, v[2:3]
	v_cmp_ne_u16_e64 s[0:1], s12, 1
	s_or_b64 s[16:17], vcc, s[0:1]
	s_mov_b64 s[14:15], 0
                                        ; implicit-def: $sgpr18_sgpr19
                                        ; implicit-def: $sgpr0_sgpr1
	s_and_saveexec_b64 s[20:21], s[16:17]
	s_xor_b64 s[16:17], exec, s[20:21]
; %bb.36:
	s_lshl_b64 s[0:1], s[2:3], 3
	s_or_b32 s0, s0, 4
	s_mul_i32 s18, s0, s29
	s_mul_hi_u32 s19, s0, s28
	s_add_i32 s18, s19, s18
	s_mul_i32 s1, s1, s28
	s_mov_b64 s[14:15], exec
	s_add_i32 s19, s18, s1
	s_mul_i32 s18, s0, s28
	s_lshl_b64 s[0:1], s[6:7], 3
                                        ; implicit-def: $vgpr2_vgpr3
; %bb.37:
	s_or_saveexec_b64 s[16:17], s[16:17]
	v_mov_b64_e32 v[4:5], s[18:19]
	v_mov_b64_e32 v[6:7], s[0:1]
	s_xor_b64 exec, exec, s[16:17]
	s_cbranch_execz .LBB0_41
; %bb.38:
	s_lshl_b64 s[0:1], s[2:3], 3
	s_or_b32 s0, s0, 4
	s_mul_i32 s2, s0, s29
	s_mul_hi_u32 s3, s0, s28
	s_add_i32 s2, s3, s2
	s_mul_i32 s1, s1, s28
	s_lshl_b64 s[18:19], s[6:7], 3
	s_lshl_b32 s20, s12, 3
	s_add_i32 s3, s2, s1
	s_mul_i32 s2, s0, s28
	s_add_u32 s0, s8, s6
	v_and_b32_e32 v4, -2, v2
	v_mov_b32_e32 v5, v3
	v_lshlrev_b32_e32 v6, 2, v0
	s_mov_b32 s21, 0
	v_mov_b32_e32 v7, 0
	s_addc_u32 s1, s9, s7
	v_mov_b32_e32 v11, v10
	v_lshl_add_u64 v[6:7], s[10:11], 0, v[6:7]
	v_lshl_add_u64 v[8:9], s[0:1], 0, v[0:1]
	s_lshl_b32 s22, s12, 1
	s_mov_b32 s23, s21
	s_mov_b64 s[24:25], 0
	s_mov_b32 s27, 0xbfb8aa3b
	s_mov_b32 s28, 0x42ce8ed0
	;; [unrolled: 1-line block ×3, first 2 shown]
	v_mov_b32_e32 v16, 0x7f800000
	s_mov_b32 s30, 0x43f00000
	s_mov_b32 s31, 0x7700000
	;; [unrolled: 1-line block ×4, first 2 shown]
	v_mov_b32_e32 v17, 0x7f
	s_movk_i32 s34, 0x80
	v_mov_b64_e32 v[12:13], v[4:5]
.LBB0_39:                               ; =>This Inner Loop Header: Depth=1
	v_lshl_add_u64 v[14:15], v[6:7], 0, s[18:19]
	global_load_dwordx2 v[14:15], v[14:15], off
	v_lshl_add_u64 v[18:19], v[6:7], 0, s[2:3]
	global_load_dwordx2 v[18:19], v[18:19], off
	v_lshl_add_u64 v[12:13], v[12:13], 0, -2
	v_cmp_eq_u64_e32 vcc, 0, v[12:13]
	s_or_b64 s[24:25], vcc, s[24:25]
	v_lshl_add_u64 v[6:7], v[6:7], 0, s[20:21]
	s_waitcnt vmcnt(1)
	v_mul_f32_e32 v20, 0xbfb8aa3b, v15
	v_mul_f32_e32 v21, 0xbfb8aa3b, v14
	v_fma_f32 v22, v15, s27, -v20
	v_rndne_f32_e32 v23, v20
	v_fma_f32 v24, v14, s27, -v21
	v_rndne_f32_e32 v25, v21
	v_fmac_f32_e32 v22, 0xb2a5705f, v15
	v_sub_f32_e32 v20, v20, v23
	v_fmac_f32_e32 v24, 0xb2a5705f, v14
	v_sub_f32_e32 v21, v21, v25
	v_add_f32_e32 v20, v20, v22
	v_add_f32_e32 v21, v21, v24
	v_cvt_i32_f32_e32 v23, v23
	v_cvt_i32_f32_e32 v25, v25
	v_exp_f32_e32 v20, v20
	v_exp_f32_e32 v21, v21
	v_cmp_nlt_f32_e32 vcc, s28, v14
	v_cmp_nlt_f32_e64 s[0:1], s28, v15
	v_ldexp_f32 v20, v20, v23
	v_ldexp_f32 v21, v21, v25
	v_cndmask_b32_e64 v20, 0, v20, s[0:1]
	v_cndmask_b32_e32 v22, 0, v21, vcc
	v_cmp_ngt_f32_e32 vcc, s29, v14
	v_cmp_ngt_f32_e64 s[0:1], s29, v15
	s_nop 1
	v_cndmask_b32_e64 v21, v16, v20, s[0:1]
	v_cndmask_b32_e32 v20, v16, v22, vcc
	v_pk_add_f32 v[20:21], v[20:21], 1.0 op_sel_hi:[1,0]
	s_nop 0
	v_div_scale_f32 v22, s[0:1], v21, v21, v15
	v_div_scale_f32 v24, s[0:1], v20, v20, v14
	v_rcp_f32_e32 v26, v22
	v_rcp_f32_e32 v27, v24
	v_div_scale_f32 v23, vcc, v15, v21, v15
	v_fma_f32 v28, -v22, v26, 1.0
	v_fma_f32 v29, -v24, v27, 1.0
	v_fmac_f32_e32 v26, v28, v26
	v_div_scale_f32 v25, s[0:1], v14, v20, v14
	v_fmac_f32_e32 v27, v29, v27
	v_mul_f32_e32 v28, v23, v26
	v_mul_f32_e32 v29, v25, v27
	v_fma_f32 v30, -v22, v28, v23
	v_fma_f32 v31, -v24, v29, v25
	v_fmac_f32_e32 v28, v30, v26
	v_fmac_f32_e32 v29, v31, v27
	v_fma_f32 v22, -v22, v28, v23
	v_fma_f32 v23, -v24, v29, v25
	v_div_fmas_f32 v22, v22, v26, v28
	s_mov_b64 vcc, s[0:1]
	v_div_fixup_f32 v15, v22, v21, v15
	v_div_fmas_f32 v21, v23, v27, v29
	v_div_fixup_f32 v14, v21, v20, v14
	s_waitcnt vmcnt(0)
	v_pk_mul_f32 v[14:15], v[18:19], v[14:15]
	s_nop 0
	v_pk_mul_f32 v[14:15], v[10:11], v[14:15]
	s_nop 0
	v_min_f32_e32 v15, 0x43e00000, v15
	v_min_f32_e32 v14, 0x43e00000, v14
	v_max_f32_e32 v18, 0xc3e00000, v14
	v_max_f32_e32 v19, 0xc3e00000, v15
	v_and_b32_e32 v15, 0x7fffffff, v19
	v_and_b32_e32 v14, 0x7fffffff, v18
	v_bfe_u32 v20, v19, 20, 1
	v_bfe_u32 v21, v18, 20, 1
	v_add_u32_e32 v24, 0xc3800000, v14
	v_add_u32_e32 v25, 0xc3800000, v15
	v_add3_u32 v21, v18, v21, s33
	v_add3_u32 v20, v19, v20, s33
	v_lshrrev_b32_e32 v22, 24, v19
	v_lshrrev_b32_e32 v23, 24, v18
	v_pk_add_f32 v[18:19], v[14:15], s[26:27] op_sel_hi:[1,0]
	v_lshrrev_b32_e32 v20, 20, v20
	v_cmp_gt_u32_e32 vcc, s31, v25
	v_lshrrev_b32_e32 v21, 20, v21
	v_cmp_gt_u32_e64 s[0:1], s31, v24
	s_nop 1
	v_cndmask_b32_e64 v18, v18, v21, s[0:1]
	v_cmp_gt_u32_e64 s[0:1], s30, v14
	v_cndmask_b32_e32 v14, v19, v20, vcc
	v_cmp_gt_u32_e32 vcc, s30, v15
	v_cndmask_b32_e64 v15, v17, v18, s[0:1]
	v_and_or_b32 v15, v23, s34, v15
	v_cndmask_b32_e32 v14, v17, v14, vcc
	v_and_or_b32 v14, v22, s34, v14
	v_lshlrev_b16_e32 v14, 8, v14
	v_or_b32_sdwa v14, v15, v14 dst_sel:DWORD dst_unused:UNUSED_PAD src0_sel:BYTE_0 src1_sel:DWORD
	global_store_short v[8:9], v14, off
	v_lshl_add_u64 v[8:9], v[8:9], 0, s[22:23]
	s_andn2_b64 exec, exec, s[24:25]
	s_cbranch_execnz .LBB0_39
; %bb.40:
	s_or_b64 exec, exec, s[24:25]
	v_mad_u64_u32 v[0:1], s[0:1], v4, s12, v[0:1]
	v_mov_b32_e32 v6, v1
	v_mad_u64_u32 v[6:7], s[0:1], v5, s12, v[6:7]
	v_cmp_ne_u64_e32 vcc, v[2:3], v[4:5]
	v_mov_b64_e32 v[4:5], s[2:3]
	s_andn2_b64 s[0:1], s[14:15], exec
	s_and_b64 s[2:3], vcc, exec
	v_mov_b32_e32 v1, v6
	v_mov_b64_e32 v[6:7], s[18:19]
	s_or_b64 s[14:15], s[0:1], s[2:3]
.LBB0_41:
	s_or_b64 exec, exec, s[16:17]
	s_and_b64 exec, exec, s[14:15]
	s_cbranch_execz .LBB0_50
; %bb.42:
	s_add_u32 s0, s8, s6
	s_addc_u32 s1, s9, s7
	v_lshl_add_u64 v[2:3], v[0:1], 2, s[10:11]
	s_lshl_b32 s2, s12, 2
	s_mov_b32 s3, 0
	s_mov_b64 s[6:7], 0
	s_mov_b32 s14, 0xbfb8aa3b
	s_mov_b32 s15, 0x42ce8ed0
	;; [unrolled: 1-line block ×3, first 2 shown]
	v_mov_b32_e32 v8, 0x7f800000
	s_mov_b32 s17, 0x43f00000
	s_mov_b32 s18, 0x3c7fffff
	;; [unrolled: 1-line block ×4, first 2 shown]
	s_movk_i32 s21, 0x80
	s_branch .LBB0_45
.LBB0_43:                               ;   in Loop: Header=BB0_45 Depth=1
	s_or_b64 exec, exec, s[10:11]
.LBB0_44:                               ;   in Loop: Header=BB0_45 Depth=1
	s_or_b64 exec, exec, s[8:9]
	v_lshl_add_u64 v[12:13], s[0:1], 0, v[0:1]
	v_lshl_add_u64 v[0:1], v[0:1], 0, s[12:13]
	v_lshrrev_b32_e32 v9, 24, v9
	v_cmp_le_i64_e32 vcc, s[4:5], v[0:1]
	v_and_or_b32 v9, v9, s21, v11
	s_or_b64 s[6:7], vcc, s[6:7]
	v_lshl_add_u64 v[2:3], v[2:3], 0, s[2:3]
	global_store_byte v[12:13], v9, off
	s_andn2_b64 exec, exec, s[6:7]
	s_cbranch_execz .LBB0_50
.LBB0_45:                               ; =>This Inner Loop Header: Depth=1
	v_lshl_add_u64 v[12:13], v[2:3], 0, v[6:7]
	global_load_dword v9, v[12:13], off
	v_lshl_add_u64 v[12:13], v[2:3], 0, v[4:5]
	global_load_dword v11, v[12:13], off
	s_waitcnt vmcnt(1)
	v_mul_f32_e32 v12, 0xbfb8aa3b, v9
	v_fma_f32 v13, v9, s14, -v12
	v_rndne_f32_e32 v14, v12
	v_fmac_f32_e32 v13, 0xb2a5705f, v9
	v_sub_f32_e32 v12, v12, v14
	v_add_f32_e32 v12, v12, v13
	v_cvt_i32_f32_e32 v14, v14
	v_exp_f32_e32 v12, v12
	v_cmp_nlt_f32_e32 vcc, s15, v9
	v_ldexp_f32 v12, v12, v14
	s_nop 0
	v_cndmask_b32_e32 v12, 0, v12, vcc
	v_cmp_ngt_f32_e32 vcc, s16, v9
	s_nop 1
	v_cndmask_b32_e32 v12, v8, v12, vcc
	v_add_f32_e32 v12, 1.0, v12
	v_div_scale_f32 v13, s[8:9], v12, v12, v9
	v_rcp_f32_e32 v14, v13
	v_div_scale_f32 v15, vcc, v9, v12, v9
	v_fma_f32 v16, -v13, v14, 1.0
	v_fmac_f32_e32 v14, v16, v14
	v_mul_f32_e32 v16, v15, v14
	v_fma_f32 v17, -v13, v16, v15
	v_fmac_f32_e32 v16, v17, v14
	v_fma_f32 v13, -v13, v16, v15
	v_div_fmas_f32 v13, v13, v14, v16
	v_div_fixup_f32 v9, v13, v12, v9
	s_waitcnt vmcnt(0)
	v_mul_f32_e32 v9, v11, v9
	v_mul_f32_e32 v9, v10, v9
	v_min_f32_e32 v9, 0x43e00000, v9
	v_max_f32_e32 v9, 0xc3e00000, v9
	v_and_b32_e32 v12, 0x7fffffff, v9
	v_cmp_gt_u32_e32 vcc, s17, v12
	v_mov_b32_e32 v11, 0x7f
	s_and_saveexec_b64 s[8:9], vcc
	s_cbranch_execz .LBB0_44
; %bb.46:                               ;   in Loop: Header=BB0_45 Depth=1
	v_cmp_lt_u32_e32 vcc, s18, v12
                                        ; implicit-def: $vgpr11
	s_and_saveexec_b64 s[10:11], vcc
	s_xor_b64 s[10:11], exec, s[10:11]
; %bb.47:                               ;   in Loop: Header=BB0_45 Depth=1
	v_bfe_u32 v11, v9, 20, 1
	v_add3_u32 v11, v9, v11, s19
	v_lshrrev_b32_e32 v11, 20, v11
; %bb.48:                               ;   in Loop: Header=BB0_45 Depth=1
	s_andn2_saveexec_b64 s[10:11], s[10:11]
	s_cbranch_execz .LBB0_43
; %bb.49:                               ;   in Loop: Header=BB0_45 Depth=1
	v_add_f32_e64 v11, |v9|, s20
	s_branch .LBB0_43
.LBB0_50:
	s_endpgm
	.section	.rodata,"a",@progbits
	.p2align	6, 0x0
	.amdhsa_kernel _ZN4vllm24act_and_mul_quant_kernelIfTnPFT_RKS1_EXadL_ZNS_11silu_kernelIfEES1_S3_EEN3c1013Float8_e4m3fnEEEvPT1_PS2_PKfi
		.amdhsa_group_segment_fixed_size 0
		.amdhsa_private_segment_fixed_size 0
		.amdhsa_kernarg_size 288
		.amdhsa_user_sgpr_count 2
		.amdhsa_user_sgpr_dispatch_ptr 0
		.amdhsa_user_sgpr_queue_ptr 0
		.amdhsa_user_sgpr_kernarg_segment_ptr 1
		.amdhsa_user_sgpr_dispatch_id 0
		.amdhsa_user_sgpr_kernarg_preload_length 0
		.amdhsa_user_sgpr_kernarg_preload_offset 0
		.amdhsa_user_sgpr_private_segment_size 0
		.amdhsa_uses_dynamic_stack 0
		.amdhsa_enable_private_segment 0
		.amdhsa_system_sgpr_workgroup_id_x 1
		.amdhsa_system_sgpr_workgroup_id_y 1
		.amdhsa_system_sgpr_workgroup_id_z 0
		.amdhsa_system_sgpr_workgroup_info 0
		.amdhsa_system_vgpr_workitem_id 0
		.amdhsa_next_free_vgpr 32
		.amdhsa_next_free_sgpr 41
		.amdhsa_accum_offset 32
		.amdhsa_reserve_vcc 1
		.amdhsa_float_round_mode_32 0
		.amdhsa_float_round_mode_16_64 0
		.amdhsa_float_denorm_mode_32 3
		.amdhsa_float_denorm_mode_16_64 3
		.amdhsa_dx10_clamp 1
		.amdhsa_ieee_mode 1
		.amdhsa_fp16_overflow 0
		.amdhsa_tg_split 0
		.amdhsa_exception_fp_ieee_invalid_op 0
		.amdhsa_exception_fp_denorm_src 0
		.amdhsa_exception_fp_ieee_div_zero 0
		.amdhsa_exception_fp_ieee_overflow 0
		.amdhsa_exception_fp_ieee_underflow 0
		.amdhsa_exception_fp_ieee_inexact 0
		.amdhsa_exception_int_div_zero 0
	.end_amdhsa_kernel
	.section	.text._ZN4vllm24act_and_mul_quant_kernelIfTnPFT_RKS1_EXadL_ZNS_11silu_kernelIfEES1_S3_EEN3c1013Float8_e4m3fnEEEvPT1_PS2_PKfi,"axG",@progbits,_ZN4vllm24act_and_mul_quant_kernelIfTnPFT_RKS1_EXadL_ZNS_11silu_kernelIfEES1_S3_EEN3c1013Float8_e4m3fnEEEvPT1_PS2_PKfi,comdat
.Lfunc_end0:
	.size	_ZN4vllm24act_and_mul_quant_kernelIfTnPFT_RKS1_EXadL_ZNS_11silu_kernelIfEES1_S3_EEN3c1013Float8_e4m3fnEEEvPT1_PS2_PKfi, .Lfunc_end0-_ZN4vllm24act_and_mul_quant_kernelIfTnPFT_RKS1_EXadL_ZNS_11silu_kernelIfEES1_S3_EEN3c1013Float8_e4m3fnEEEvPT1_PS2_PKfi
                                        ; -- End function
	.section	.AMDGPU.csdata,"",@progbits
; Kernel info:
; codeLenInByte = 4208
; NumSgprs: 47
; NumVgprs: 32
; NumAgprs: 0
; TotalNumVgprs: 32
; ScratchSize: 0
; MemoryBound: 0
; FloatMode: 240
; IeeeMode: 1
; LDSByteSize: 0 bytes/workgroup (compile time only)
; SGPRBlocks: 5
; VGPRBlocks: 3
; NumSGPRsForWavesPerEU: 47
; NumVGPRsForWavesPerEU: 32
; AccumOffset: 32
; Occupancy: 8
; WaveLimiterHint : 0
; COMPUTE_PGM_RSRC2:SCRATCH_EN: 0
; COMPUTE_PGM_RSRC2:USER_SGPR: 2
; COMPUTE_PGM_RSRC2:TRAP_HANDLER: 0
; COMPUTE_PGM_RSRC2:TGID_X_EN: 1
; COMPUTE_PGM_RSRC2:TGID_Y_EN: 1
; COMPUTE_PGM_RSRC2:TGID_Z_EN: 0
; COMPUTE_PGM_RSRC2:TIDIG_COMP_CNT: 0
; COMPUTE_PGM_RSRC3_GFX90A:ACCUM_OFFSET: 7
; COMPUTE_PGM_RSRC3_GFX90A:TG_SPLIT: 0
	.section	.text._ZN4vllm24act_and_mul_quant_kernelIfTnPFT_RKS1_EXadL_ZNS_11silu_kernelIfEES1_S3_EEN3c1015Float8_e4m3fnuzEEEvPT1_PS2_PKfi,"axG",@progbits,_ZN4vllm24act_and_mul_quant_kernelIfTnPFT_RKS1_EXadL_ZNS_11silu_kernelIfEES1_S3_EEN3c1015Float8_e4m3fnuzEEEvPT1_PS2_PKfi,comdat
	.protected	_ZN4vllm24act_and_mul_quant_kernelIfTnPFT_RKS1_EXadL_ZNS_11silu_kernelIfEES1_S3_EEN3c1015Float8_e4m3fnuzEEEvPT1_PS2_PKfi ; -- Begin function _ZN4vllm24act_and_mul_quant_kernelIfTnPFT_RKS1_EXadL_ZNS_11silu_kernelIfEES1_S3_EEN3c1015Float8_e4m3fnuzEEEvPT1_PS2_PKfi
	.globl	_ZN4vllm24act_and_mul_quant_kernelIfTnPFT_RKS1_EXadL_ZNS_11silu_kernelIfEES1_S3_EEN3c1015Float8_e4m3fnuzEEEvPT1_PS2_PKfi
	.p2align	8
	.type	_ZN4vllm24act_and_mul_quant_kernelIfTnPFT_RKS1_EXadL_ZNS_11silu_kernelIfEES1_S3_EEN3c1015Float8_e4m3fnuzEEEvPT1_PS2_PKfi,@function
_ZN4vllm24act_and_mul_quant_kernelIfTnPFT_RKS1_EXadL_ZNS_11silu_kernelIfEES1_S3_EEN3c1015Float8_e4m3fnuzEEEvPT1_PS2_PKfi: ; @_ZN4vllm24act_and_mul_quant_kernelIfTnPFT_RKS1_EXadL_ZNS_11silu_kernelIfEES1_S3_EEN3c1015Float8_e4m3fnuzEEEvPT1_PS2_PKfi
; %bb.0:
	s_mov_b32 s4, s3
	s_load_dword s3, s[0:1], 0x24
	s_load_dword s30, s[0:1], 0x18
	s_add_u32 s14, s0, 32
	s_addc_u32 s15, s1, 0
	s_load_dwordx2 s[16:17], s[0:1], 0x0
	s_waitcnt lgkmcnt(0)
	s_abs_i32 s5, s3
	v_cvt_f32_u32_e32 v1, s5
	s_sub_i32 s7, 0, s5
	s_add_i32 s6, s30, s3
	s_add_i32 s6, s6, -1
	v_rcp_iflag_f32_e32 v1, v1
	s_xor_b32 s3, s6, s3
	s_abs_i32 s6, s6
	s_ashr_i32 s3, s3, 31
	v_mul_f32_e32 v1, 0x4f7ffffe, v1
	v_cvt_u32_f32_e32 v1, v1
	s_nop 0
	v_readfirstlane_b32 s8, v1
	s_mul_i32 s7, s7, s8
	s_mul_hi_u32 s7, s8, s7
	s_add_i32 s8, s8, s7
	s_mul_hi_u32 s7, s6, s8
	s_mul_i32 s8, s7, s5
	s_sub_i32 s6, s6, s8
	s_add_i32 s8, s7, 1
	s_sub_i32 s9, s6, s5
	s_cmp_ge_u32 s6, s5
	s_cselect_b32 s7, s8, s7
	s_cselect_b32 s6, s9, s6
	s_add_i32 s8, s7, 1
	s_cmp_ge_u32 s6, s5
	s_cselect_b32 s5, s8, s7
	s_xor_b32 s5, s5, s3
	s_sub_i32 s5, s5, s3
	s_and_b32 s3, s5, 3
	s_cmp_eq_u32 s3, 0
	s_mov_b32 s3, 0
	s_cbranch_scc1 .LBB1_2
; %bb.1:
	s_ashr_i32 s6, s5, 31
	s_lshr_b32 s6, s6, 30
	s_add_i32 s5, s5, s6
	s_and_b32 s5, s5, -4
	s_add_i32 s5, s5, 4
.LBB1_2:
	s_mul_i32 s4, s5, s4
	s_add_i32 s5, s4, s5
	s_min_i32 s12, s5, s30
	s_abs_i32 s5, s12
	v_cvt_f32_u32_e32 v1, s5
	s_ashr_i32 s31, s30, 31
	s_load_dwordx4 s[8:11], s[0:1], 0x8
	s_mul_hi_u32 s0, s30, s2
	v_rcp_iflag_f32_e32 v1, v1
	s_mul_i32 s1, s31, s2
	s_add_i32 s19, s0, s1
	s_sub_i32 s0, 0, s5
	v_mul_f32_e32 v1, 0x4f7ffffe, v1
	v_cvt_u32_f32_e32 v1, v1
	s_waitcnt lgkmcnt(0)
	s_load_dword s6, s[10:11], 0x0
	s_mul_i32 s18, s30, s2
	v_readfirstlane_b32 s1, v1
	s_mul_i32 s0, s0, s1
	s_mul_hi_u32 s0, s1, s0
	s_add_i32 s1, s1, s0
	s_lshr_b32 s0, s1, 30
	s_mul_i32 s0, s0, s5
	s_sub_i32 s0, 4, s0
	s_sub_i32 s1, s0, s5
	s_cmp_ge_u32 s0, s5
	s_cselect_b32 s0, s1, s0
	s_sub_i32 s1, s0, s5
	s_cmp_ge_u32 s0, s5
	s_cselect_b32 s13, s1, s0
	s_cmp_eq_u32 s13, 0
	s_cselect_b64 s[0:1], -1, 0
	v_cndmask_b32_e64 v13, 0, 1, s[0:1]
	s_waitcnt lgkmcnt(0)
	v_div_scale_f32 v1, s[0:1], s6, s6, 1.0
	v_rcp_f32_e32 v2, v1
	s_ashr_i32 s5, s4, 31
	s_lshr_b32 s0, s5, 30
	s_add_i32 s4, s4, s0
	v_fma_f32 v3, -v1, v2, 1.0
	v_fmac_f32_e32 v2, v3, v2
	v_div_scale_f32 v3, vcc, 1.0, s6, 1.0
	v_mul_f32_e32 v4, v3, v2
	v_fma_f32 v5, -v1, v4, v3
	v_fmac_f32_e32 v4, v5, v2
	s_ashr_i32 s0, s4, 2
	v_fma_f32 v1, -v1, v4, v3
	v_div_fmas_f32 v1, v1, v2, v4
	v_add_u32_e32 v14, s0, v0
	v_div_fixup_f32 v12, v1, s6, 1.0
	v_cmp_lt_i32_e32 vcc, v14, v13
	s_and_saveexec_b64 s[10:11], vcc
	s_cbranch_execz .LBB1_5
; %bb.3:
	s_load_dword s4, s[14:15], 0xc
	v_mov_b32_e32 v3, 0
	s_ashr_i32 s1, s0, 31
	v_mov_b32_e32 v1, v3
	v_lshl_add_u64 v[6:7], s[0:1], 0, v[0:1]
	s_lshl_b64 s[0:1], s[2:3], 3
	s_or_b32 s0, s0, 4
	s_waitcnt lgkmcnt(0)
	s_and_b32 s33, s4, 0xffff
	s_mul_i32 s4, s0, s31
	s_mul_hi_u32 s5, s0, s30
	s_add_i32 s4, s5, s4
	s_mul_i32 s1, s1, s30
	s_lshl_b64 s[20:21], s[18:19], 3
	s_lshl_b32 s22, s33, 4
	s_add_i32 s25, s4, s1
	s_mul_i32 s24, s0, s30
	s_add_u32 s0, s16, s18
	s_mov_b32 s23, 0
	s_addc_u32 s1, s17, s19
	v_lshl_add_u64 v[4:5], v[6:7], 4, s[8:9]
	v_lshl_add_u64 v[6:7], v[6:7], 3, s[0:1]
	s_lshl_b32 s26, s33, 3
	s_mov_b32 s27, s23
	s_mov_b64 s[28:29], 0
	s_mov_b32 s34, 0xbfb8aa3b
	s_mov_b32 s35, 0x42ce8ed0
	;; [unrolled: 1-line block ×4, first 2 shown]
	v_mov_b32_e32 v1, 0x7f800000
	s_mov_b32 s38, 0x43700000
	v_mov_b32_e32 v15, 0xc3700000
	s_mov_b32 s39, 0x4020c0c
.LBB1_4:                                ; =>This Inner Loop Header: Depth=1
	v_lshl_add_u64 v[8:9], v[4:5], 0, s[20:21]
	v_lshl_add_u64 v[10:11], v[4:5], 0, s[24:25]
	global_load_dwordx4 v[16:19], v[8:9], off
	global_load_dwordx4 v[20:23], v[10:11], off
	v_add_u32_e32 v14, s33, v14
	v_cmp_ge_i32_e32 vcc, v14, v13
	s_or_b64 s[28:29], vcc, s[28:29]
	v_mov_b32_e32 v2, 0
	v_mov_b32_e32 v24, 0
	;; [unrolled: 1-line block ×4, first 2 shown]
	v_lshl_add_u64 v[4:5], v[4:5], 0, s[22:23]
	s_waitcnt vmcnt(1)
	v_mul_f32_e32 v8, 0xbfb8aa3b, v16
	v_mul_f32_e32 v9, 0xbfb8aa3b, v17
	v_fma_f32 v27, v16, s34, -v8
	v_rndne_f32_e32 v28, v8
	v_mul_f32_e32 v10, 0xbfb8aa3b, v18
	v_fma_f32 v29, v17, s34, -v9
	v_rndne_f32_e32 v30, v9
	v_fmac_f32_e32 v27, 0xb2a5705f, v16
	v_sub_f32_e32 v8, v8, v28
	v_mul_f32_e32 v11, 0xbfb8aa3b, v19
	v_fma_f32 v31, v18, s34, -v10
	v_rndne_f32_e32 v32, v10
	v_fmac_f32_e32 v29, 0xb2a5705f, v17
	v_sub_f32_e32 v9, v9, v30
	v_add_f32_e32 v8, v8, v27
	v_fma_f32 v33, v19, s34, -v11
	v_rndne_f32_e32 v34, v11
	v_cvt_i32_f32_e32 v28, v28
	v_fmac_f32_e32 v31, 0xb2a5705f, v18
	v_sub_f32_e32 v10, v10, v32
	v_add_f32_e32 v9, v9, v29
	v_exp_f32_e32 v8, v8
	v_cvt_i32_f32_e32 v30, v30
	v_fmac_f32_e32 v33, 0xb2a5705f, v19
	v_sub_f32_e32 v11, v11, v34
	v_add_f32_e32 v10, v10, v31
	v_exp_f32_e32 v9, v9
	v_cvt_i32_f32_e32 v32, v32
	v_add_f32_e32 v11, v11, v33
	v_exp_f32_e32 v10, v10
	v_cvt_i32_f32_e32 v34, v34
	v_exp_f32_e32 v11, v11
	v_ldexp_f32 v8, v8, v28
	v_cmp_nlt_f32_e64 s[6:7], s35, v16
	v_ldexp_f32 v9, v9, v30
	v_cmp_nlt_f32_e32 vcc, s35, v17
	v_cndmask_b32_e64 v8, 0, v8, s[6:7]
	v_cmp_ngt_f32_e64 s[6:7], s36, v16
	v_ldexp_f32 v10, v10, v32
	v_cmp_nlt_f32_e64 s[0:1], s35, v18
	v_cndmask_b32_e32 v9, 0, v9, vcc
	v_cmp_ngt_f32_e32 vcc, s36, v17
	v_cndmask_b32_e64 v8, v1, v8, s[6:7]
	v_ldexp_f32 v11, v11, v34
	v_cmp_nlt_f32_e64 s[4:5], s35, v19
	v_cndmask_b32_e64 v10, 0, v10, s[0:1]
	v_cmp_ngt_f32_e64 s[0:1], s36, v18
	v_cndmask_b32_e32 v9, v1, v9, vcc
	v_add_f32_e32 v8, 1.0, v8
	v_cndmask_b32_e64 v11, 0, v11, s[4:5]
	v_cmp_ngt_f32_e64 s[4:5], s36, v19
	v_cndmask_b32_e64 v10, v1, v10, s[0:1]
	v_add_f32_e32 v9, 1.0, v9
	v_div_scale_f32 v27, s[0:1], v8, v8, v16
	v_cndmask_b32_e64 v11, v1, v11, s[4:5]
	v_add_f32_e32 v10, 1.0, v10
	v_div_scale_f32 v29, s[0:1], v9, v9, v17
	v_rcp_f32_e32 v35, v27
	v_add_f32_e32 v11, 1.0, v11
	v_div_scale_f32 v31, s[4:5], v10, v10, v18
	v_rcp_f32_e32 v36, v29
	v_div_scale_f32 v33, s[6:7], v11, v11, v19
	v_rcp_f32_e32 v37, v31
	v_rcp_f32_e32 v38, v33
	v_fma_f32 v39, -v27, v35, 1.0
	v_div_scale_f32 v28, vcc, v16, v8, v16
	v_fma_f32 v40, -v29, v36, 1.0
	v_fmac_f32_e32 v35, v39, v35
	v_div_scale_f32 v30, s[0:1], v17, v9, v17
	v_fma_f32 v41, -v31, v37, 1.0
	v_fmac_f32_e32 v36, v40, v36
	v_mul_f32_e32 v39, v28, v35
	v_div_scale_f32 v32, s[4:5], v18, v10, v18
	v_fma_f32 v42, -v33, v38, 1.0
	v_fmac_f32_e32 v37, v41, v37
	v_mul_f32_e32 v40, v30, v36
	v_fma_f32 v43, -v27, v39, v28
	v_div_scale_f32 v34, s[6:7], v19, v11, v19
	v_fmac_f32_e32 v38, v42, v38
	v_mul_f32_e32 v41, v32, v37
	v_fma_f32 v44, -v29, v40, v30
	v_fmac_f32_e32 v39, v43, v35
	v_mul_f32_e32 v42, v34, v38
	v_fma_f32 v45, -v31, v41, v32
	v_fmac_f32_e32 v40, v44, v36
	v_fma_f32 v27, -v27, v39, v28
	v_fma_f32 v46, -v33, v42, v34
	v_fmac_f32_e32 v41, v45, v37
	v_fma_f32 v28, -v29, v40, v30
	v_div_fmas_f32 v27, v27, v35, v39
	s_mov_b64 vcc, s[0:1]
	v_fmac_f32_e32 v42, v46, v38
	v_fma_f32 v29, -v31, v41, v32
	v_div_fixup_f32 v8, v27, v8, v16
	v_div_fmas_f32 v16, v28, v36, v40
	s_mov_b64 vcc, s[4:5]
	v_fma_f32 v30, -v33, v42, v34
	s_waitcnt vmcnt(0)
	v_mul_f32_e32 v8, v20, v8
	v_div_fixup_f32 v9, v16, v9, v17
	v_div_fmas_f32 v16, v29, v37, v41
	s_mov_b64 vcc, s[6:7]
	v_mul_f32_e32 v8, v12, v8
	v_mul_f32_e32 v9, v21, v9
	v_div_fixup_f32 v10, v16, v10, v18
	v_div_fmas_f32 v16, v30, v38, v42
	v_min_f32_e32 v8, 0x43600000, v8
	v_mul_f32_e32 v9, v12, v9
	v_mul_f32_e32 v10, v22, v10
	v_div_fixup_f32 v11, v16, v11, v19
	v_max_f32_e32 v8, 0xc3600000, v8
	v_min_f32_e32 v9, 0x43600000, v9
	v_mul_f32_e32 v10, v12, v10
	v_mul_f32_e32 v11, v23, v11
	v_med3_f32 v16, v8, s38, v15
	v_max_f32_e32 v9, 0xc3600000, v9
	v_min_f32_e32 v10, 0x43600000, v10
	v_mul_f32_e32 v11, v12, v11
	v_cmp_nlg_f32_e64 vcc, |v8|, s37
	v_max_f32_e32 v10, 0xc3600000, v10
	v_min_f32_e32 v11, 0x43600000, v11
	v_cndmask_b32_e32 v8, v16, v8, vcc
	v_med3_f32 v16, v9, s38, v15
	v_cmp_nlg_f32_e64 vcc, |v9|, s37
	v_cvt_pk_fp8_f32 v2, v8, v8
	v_max_f32_e32 v11, 0xc3600000, v11
	v_cndmask_b32_e32 v8, v16, v9, vcc
	v_med3_f32 v9, v10, s38, v15
	v_cmp_nlg_f32_e64 vcc, |v10|, s37
	v_cvt_pk_fp8_f32 v24, v8, v8
	v_and_b32_e32 v2, 0xff, v2
	v_cndmask_b32_e32 v8, v9, v10, vcc
	v_med3_f32 v9, v11, s38, v15
	v_cmp_nlg_f32_e64 vcc, |v11|, s37
	v_cvt_pk_fp8_f32 v25, v8, v8
	s_nop 0
	v_cndmask_b32_e32 v8, v9, v11, vcc
	v_cvt_pk_fp8_f32 v26, v8, v8
	v_lshlrev_b32_e32 v8, 8, v24
	v_lshlrev_b32_e32 v9, 16, v25
	v_and_b32_e32 v8, 0xff00, v8
	v_perm_b32 v9, v26, v9, s39
	v_or3_b32 v2, v9, v8, v2
	global_store_dwordx2 v[6:7], v[2:3], off
	v_lshl_add_u64 v[6:7], v[6:7], 0, s[26:27]
	s_andn2_b64 exec, exec, s[28:29]
	s_cbranch_execnz .LBB1_4
.LBB1_5:
	s_or_b64 exec, exec, s[10:11]
	s_sub_i32 s0, 4, s13
	s_cmp_gt_i32 s12, s0
	s_cbranch_scc0 .LBB1_9
; %bb.6:
	v_add_u32_e32 v0, s0, v0
	v_cmp_gt_i32_e32 vcc, s12, v0
	s_and_saveexec_b64 s[0:1], vcc
	s_cbranch_execz .LBB1_9
; %bb.7:
	s_ashr_i32 s13, s12, 31
	s_load_dword s4, s[14:15], 0xc
	s_add_u32 s0, s16, s18
	s_addc_u32 s1, s17, s19
	s_lshl_b64 s[2:3], s[2:3], 3
	s_or_b32 s2, s2, 4
	v_mov_b32_e32 v1, 0
	s_mul_i32 s6, s2, s31
	s_mul_hi_u32 s7, s2, s30
	s_mov_b32 s5, 0
	s_waitcnt lgkmcnt(0)
	s_and_b32 s4, s4, 0xffff
	s_add_i32 s6, s7, s6
	s_mul_i32 s3, s3, s30
	v_lshlrev_b32_e32 v2, 2, v0
	v_mov_b32_e32 v3, v1
	s_add_i32 s3, s6, s3
	s_mul_i32 s2, s2, s30
	v_lshl_add_u64 v[2:3], s[8:9], 0, v[2:3]
	s_lshl_b32 s6, s4, 2
	s_mov_b32 s7, s5
	s_lshl_b64 s[8:9], s[18:19], 3
	s_mov_b64 s[10:11], 0
	s_mov_b32 s14, 0xbfb8aa3b
	s_mov_b32 s15, 0x42ce8ed0
	;; [unrolled: 1-line block ×4, first 2 shown]
	v_mov_b32_e32 v4, 0x7f800000
	s_mov_b32 s18, 0x43700000
	v_mov_b32_e32 v5, 0xc3700000
.LBB1_8:                                ; =>This Inner Loop Header: Depth=1
	v_lshl_add_u64 v[6:7], v[2:3], 0, s[8:9]
	global_load_dword v8, v[6:7], off
	v_lshl_add_u64 v[6:7], v[2:3], 0, s[2:3]
	global_load_dword v9, v[6:7], off
	v_mov_b32_e32 v10, 0
	v_lshl_add_u64 v[6:7], s[0:1], 0, v[0:1]
	v_lshl_add_u64 v[0:1], v[0:1], 0, s[4:5]
	v_lshl_add_u64 v[2:3], v[2:3], 0, s[6:7]
	s_waitcnt vmcnt(1)
	v_mul_f32_e32 v11, 0xbfb8aa3b, v8
	v_fma_f32 v13, v8, s14, -v11
	v_rndne_f32_e32 v14, v11
	v_fmac_f32_e32 v13, 0xb2a5705f, v8
	v_sub_f32_e32 v11, v11, v14
	v_add_f32_e32 v11, v11, v13
	v_cvt_i32_f32_e32 v14, v14
	v_exp_f32_e32 v11, v11
	v_cmp_nlt_f32_e32 vcc, s15, v8
	v_ldexp_f32 v11, v11, v14
	s_nop 0
	v_cndmask_b32_e32 v11, 0, v11, vcc
	v_cmp_ngt_f32_e32 vcc, s16, v8
	s_nop 1
	v_cndmask_b32_e32 v11, v4, v11, vcc
	v_add_f32_e32 v11, 1.0, v11
	v_div_scale_f32 v13, s[20:21], v11, v11, v8
	v_rcp_f32_e32 v14, v13
	v_div_scale_f32 v15, vcc, v8, v11, v8
	v_fma_f32 v16, -v13, v14, 1.0
	v_fmac_f32_e32 v14, v16, v14
	v_mul_f32_e32 v16, v15, v14
	v_fma_f32 v17, -v13, v16, v15
	v_fmac_f32_e32 v16, v17, v14
	v_fma_f32 v13, -v13, v16, v15
	v_div_fmas_f32 v13, v13, v14, v16
	v_div_fixup_f32 v8, v13, v11, v8
	s_waitcnt vmcnt(0)
	v_mul_f32_e32 v8, v9, v8
	v_mul_f32_e32 v8, v12, v8
	v_min_f32_e32 v8, 0x43600000, v8
	v_max_f32_e32 v8, 0xc3600000, v8
	v_med3_f32 v9, v8, s18, v5
	v_cmp_nlg_f32_e64 vcc, |v8|, s17
	s_nop 1
	v_cndmask_b32_e32 v8, v9, v8, vcc
	v_cvt_pk_fp8_f32 v10, v8, v8
	v_cmp_le_i64_e32 vcc, s[12:13], v[0:1]
	s_or_b64 s[10:11], vcc, s[10:11]
	global_store_byte v[6:7], v10, off
	s_andn2_b64 exec, exec, s[10:11]
	s_cbranch_execnz .LBB1_8
.LBB1_9:
	s_endpgm
	.section	.rodata,"a",@progbits
	.p2align	6, 0x0
	.amdhsa_kernel _ZN4vllm24act_and_mul_quant_kernelIfTnPFT_RKS1_EXadL_ZNS_11silu_kernelIfEES1_S3_EEN3c1015Float8_e4m3fnuzEEEvPT1_PS2_PKfi
		.amdhsa_group_segment_fixed_size 0
		.amdhsa_private_segment_fixed_size 0
		.amdhsa_kernarg_size 288
		.amdhsa_user_sgpr_count 2
		.amdhsa_user_sgpr_dispatch_ptr 0
		.amdhsa_user_sgpr_queue_ptr 0
		.amdhsa_user_sgpr_kernarg_segment_ptr 1
		.amdhsa_user_sgpr_dispatch_id 0
		.amdhsa_user_sgpr_kernarg_preload_length 0
		.amdhsa_user_sgpr_kernarg_preload_offset 0
		.amdhsa_user_sgpr_private_segment_size 0
		.amdhsa_uses_dynamic_stack 0
		.amdhsa_enable_private_segment 0
		.amdhsa_system_sgpr_workgroup_id_x 1
		.amdhsa_system_sgpr_workgroup_id_y 1
		.amdhsa_system_sgpr_workgroup_id_z 0
		.amdhsa_system_sgpr_workgroup_info 0
		.amdhsa_system_vgpr_workitem_id 0
		.amdhsa_next_free_vgpr 47
		.amdhsa_next_free_sgpr 40
		.amdhsa_accum_offset 48
		.amdhsa_reserve_vcc 1
		.amdhsa_float_round_mode_32 0
		.amdhsa_float_round_mode_16_64 0
		.amdhsa_float_denorm_mode_32 3
		.amdhsa_float_denorm_mode_16_64 3
		.amdhsa_dx10_clamp 1
		.amdhsa_ieee_mode 1
		.amdhsa_fp16_overflow 0
		.amdhsa_tg_split 0
		.amdhsa_exception_fp_ieee_invalid_op 0
		.amdhsa_exception_fp_denorm_src 0
		.amdhsa_exception_fp_ieee_div_zero 0
		.amdhsa_exception_fp_ieee_overflow 0
		.amdhsa_exception_fp_ieee_underflow 0
		.amdhsa_exception_fp_ieee_inexact 0
		.amdhsa_exception_int_div_zero 0
	.end_amdhsa_kernel
	.section	.text._ZN4vllm24act_and_mul_quant_kernelIfTnPFT_RKS1_EXadL_ZNS_11silu_kernelIfEES1_S3_EEN3c1015Float8_e4m3fnuzEEEvPT1_PS2_PKfi,"axG",@progbits,_ZN4vllm24act_and_mul_quant_kernelIfTnPFT_RKS1_EXadL_ZNS_11silu_kernelIfEES1_S3_EEN3c1015Float8_e4m3fnuzEEEvPT1_PS2_PKfi,comdat
.Lfunc_end1:
	.size	_ZN4vllm24act_and_mul_quant_kernelIfTnPFT_RKS1_EXadL_ZNS_11silu_kernelIfEES1_S3_EEN3c1015Float8_e4m3fnuzEEEvPT1_PS2_PKfi, .Lfunc_end1-_ZN4vllm24act_and_mul_quant_kernelIfTnPFT_RKS1_EXadL_ZNS_11silu_kernelIfEES1_S3_EEN3c1015Float8_e4m3fnuzEEEvPT1_PS2_PKfi
                                        ; -- End function
	.section	.AMDGPU.csdata,"",@progbits
; Kernel info:
; codeLenInByte = 2120
; NumSgprs: 46
; NumVgprs: 47
; NumAgprs: 0
; TotalNumVgprs: 47
; ScratchSize: 0
; MemoryBound: 0
; FloatMode: 240
; IeeeMode: 1
; LDSByteSize: 0 bytes/workgroup (compile time only)
; SGPRBlocks: 5
; VGPRBlocks: 5
; NumSGPRsForWavesPerEU: 46
; NumVGPRsForWavesPerEU: 47
; AccumOffset: 48
; Occupancy: 8
; WaveLimiterHint : 0
; COMPUTE_PGM_RSRC2:SCRATCH_EN: 0
; COMPUTE_PGM_RSRC2:USER_SGPR: 2
; COMPUTE_PGM_RSRC2:TRAP_HANDLER: 0
; COMPUTE_PGM_RSRC2:TGID_X_EN: 1
; COMPUTE_PGM_RSRC2:TGID_Y_EN: 1
; COMPUTE_PGM_RSRC2:TGID_Z_EN: 0
; COMPUTE_PGM_RSRC2:TIDIG_COMP_CNT: 0
; COMPUTE_PGM_RSRC3_GFX90A:ACCUM_OFFSET: 11
; COMPUTE_PGM_RSRC3_GFX90A:TG_SPLIT: 0
	.section	.text._ZN4vllm24act_and_mul_quant_kernelIN3c104HalfETnPFT_RKS3_EXadL_ZNS_11silu_kernelIS2_EES3_S5_EENS1_13Float8_e4m3fnEEEvPT1_PS4_PKfi,"axG",@progbits,_ZN4vllm24act_and_mul_quant_kernelIN3c104HalfETnPFT_RKS3_EXadL_ZNS_11silu_kernelIS2_EES3_S5_EENS1_13Float8_e4m3fnEEEvPT1_PS4_PKfi,comdat
	.protected	_ZN4vllm24act_and_mul_quant_kernelIN3c104HalfETnPFT_RKS3_EXadL_ZNS_11silu_kernelIS2_EES3_S5_EENS1_13Float8_e4m3fnEEEvPT1_PS4_PKfi ; -- Begin function _ZN4vllm24act_and_mul_quant_kernelIN3c104HalfETnPFT_RKS3_EXadL_ZNS_11silu_kernelIS2_EES3_S5_EENS1_13Float8_e4m3fnEEEvPT1_PS4_PKfi
	.globl	_ZN4vllm24act_and_mul_quant_kernelIN3c104HalfETnPFT_RKS3_EXadL_ZNS_11silu_kernelIS2_EES3_S5_EENS1_13Float8_e4m3fnEEEvPT1_PS4_PKfi
	.p2align	8
	.type	_ZN4vllm24act_and_mul_quant_kernelIN3c104HalfETnPFT_RKS3_EXadL_ZNS_11silu_kernelIS2_EES3_S5_EENS1_13Float8_e4m3fnEEEvPT1_PS4_PKfi,@function
_ZN4vllm24act_and_mul_quant_kernelIN3c104HalfETnPFT_RKS3_EXadL_ZNS_11silu_kernelIS2_EES3_S5_EENS1_13Float8_e4m3fnEEEvPT1_PS4_PKfi: ; @_ZN4vllm24act_and_mul_quant_kernelIN3c104HalfETnPFT_RKS3_EXadL_ZNS_11silu_kernelIS2_EES3_S5_EENS1_13Float8_e4m3fnEEEvPT1_PS4_PKfi
; %bb.0:
	s_mov_b32 s4, s3
	s_load_dword s3, s[0:1], 0x24
	s_load_dword s28, s[0:1], 0x18
	s_add_u32 s14, s0, 32
	s_addc_u32 s15, s1, 0
	s_load_dwordx4 s[8:11], s[0:1], 0x0
	s_waitcnt lgkmcnt(0)
	s_abs_i32 s5, s3
	v_cvt_f32_u32_e32 v1, s5
	s_sub_i32 s7, 0, s5
	s_add_i32 s6, s28, s3
	s_add_i32 s6, s6, -1
	v_rcp_iflag_f32_e32 v1, v1
	s_xor_b32 s3, s6, s3
	s_abs_i32 s6, s6
	s_ashr_i32 s3, s3, 31
	v_mul_f32_e32 v1, 0x4f7ffffe, v1
	v_cvt_u32_f32_e32 v1, v1
	s_nop 0
	v_readfirstlane_b32 s12, v1
	s_mul_i32 s7, s7, s12
	s_mul_hi_u32 s7, s12, s7
	s_add_i32 s12, s12, s7
	s_mul_hi_u32 s7, s6, s12
	s_mul_i32 s12, s7, s5
	s_sub_i32 s6, s6, s12
	s_add_i32 s12, s7, 1
	s_sub_i32 s13, s6, s5
	s_cmp_ge_u32 s6, s5
	s_cselect_b32 s7, s12, s7
	s_cselect_b32 s6, s13, s6
	s_add_i32 s12, s7, 1
	s_cmp_ge_u32 s6, s5
	s_cselect_b32 s5, s12, s7
	s_xor_b32 s5, s5, s3
	s_sub_i32 s5, s5, s3
	s_and_b32 s3, s5, 7
	s_cmp_eq_u32 s3, 0
	s_mov_b32 s3, 0
	s_cbranch_scc1 .LBB2_2
; %bb.1:
	s_ashr_i32 s6, s5, 31
	s_lshr_b32 s6, s6, 29
	s_add_i32 s5, s5, s6
	s_and_b32 s5, s5, -8
	s_add_i32 s5, s5, 8
.LBB2_2:
	s_mul_i32 s4, s5, s4
	s_add_i32 s5, s4, s5
	s_min_i32 s6, s5, s28
	s_abs_i32 s5, s6
	v_cvt_f32_u32_e32 v1, s5
	s_load_dwordx2 s[0:1], s[0:1], 0x10
	s_ashr_i32 s29, s28, 31
	s_mul_hi_u32 s7, s28, s2
	v_rcp_iflag_f32_e32 v1, v1
	s_mul_i32 s13, s29, s2
	s_add_i32 s13, s7, s13
	s_sub_i32 s7, 0, s5
	v_mul_f32_e32 v1, 0x4f7ffffe, v1
	v_cvt_u32_f32_e32 v1, v1
	s_waitcnt lgkmcnt(0)
	s_load_dword s16, s[0:1], 0x0
	s_mul_i32 s12, s28, s2
	v_readfirstlane_b32 s0, v1
	s_mul_i32 s7, s7, s0
	s_mul_hi_u32 s1, s0, s7
	s_add_i32 s0, s0, s1
	s_lshr_b32 s0, s0, 29
	s_mul_i32 s0, s0, s5
	s_sub_i32 s0, 8, s0
	s_sub_i32 s1, s0, s5
	s_cmp_ge_u32 s0, s5
	s_cselect_b32 s0, s1, s0
	s_sub_i32 s1, s0, s5
	s_cmp_ge_u32 s0, s5
	s_cselect_b32 s7, s1, s0
	s_cmp_eq_u32 s7, 0
	s_cselect_b64 s[0:1], -1, 0
	v_cndmask_b32_e64 v11, 0, 1, s[0:1]
	s_waitcnt lgkmcnt(0)
	v_div_scale_f32 v1, s[0:1], s16, s16, 1.0
	v_rcp_f32_e32 v2, v1
	s_ashr_i32 s5, s4, 31
	s_lshr_b32 s0, s5, 29
	s_add_i32 s4, s4, s0
	v_fma_f32 v3, -v1, v2, 1.0
	v_fmac_f32_e32 v2, v3, v2
	v_div_scale_f32 v3, vcc, 1.0, s16, 1.0
	v_mul_f32_e32 v4, v3, v2
	v_fma_f32 v5, -v1, v4, v3
	v_fmac_f32_e32 v4, v5, v2
	s_ashr_i32 s18, s4, 3
	v_fma_f32 v1, -v1, v4, v3
	v_div_fmas_f32 v1, v1, v2, v4
	v_add_u32_e32 v16, s18, v0
	v_div_fixup_f32 v10, v1, s16, 1.0
	v_cmp_lt_i32_e32 vcc, v16, v11
	s_and_saveexec_b64 s[0:1], vcc
	s_cbranch_execz .LBB2_53
; %bb.3:
	s_load_dword s16, s[14:15], 0xc
	s_ashr_i32 s19, s18, 31
	v_mov_b32_e32 v1, 0
	v_lshl_add_u64 v[2:3], s[18:19], 0, v[0:1]
	s_lshl_b64 s[18:19], s[2:3], 2
	s_or_b32 s18, s18, 2
	s_mul_i32 s20, s18, s29
	s_mul_hi_u32 s21, s18, s28
	s_waitcnt lgkmcnt(0)
	s_and_b32 s30, s16, 0xffff
	s_add_i32 s20, s21, s20
	s_mul_i32 s19, s19, s28
	s_lshl_b64 s[4:5], s[12:13], 2
	s_lshl_b32 s16, s30, 4
	s_add_i32 s19, s20, s19
	s_add_u32 s20, s8, s12
	s_mov_b32 s17, 0
	s_addc_u32 s21, s9, s13
	v_lshl_add_u64 v[12:13], v[2:3], 4, s[10:11]
	s_mul_i32 s18, s18, s28
	v_lshl_add_u64 v[14:15], v[2:3], 3, s[20:21]
	s_lshl_b32 s20, s30, 3
	s_mov_b32 s21, s17
	s_mov_b64 s[22:23], 0
	s_mov_b32 s31, 0x3fb8aa3b
	s_mov_b32 s33, 0x32a5705f
	;; [unrolled: 1-line block ×4, first 2 shown]
	v_mov_b32_e32 v1, 0x7f800000
	s_mov_b32 s36, 0x43f00000
	s_mov_b32 s37, 0x3c7fffff
	s_mov_b32 s38, 0x407ffff
	s_mov_b32 s39, 0x46800000
	s_movk_i32 s40, 0x80
	s_movk_i32 s41, 0xff
	s_branch .LBB2_6
.LBB2_4:                                ;   in Loop: Header=BB2_6 Depth=1
	s_or_b64 exec, exec, s[26:27]
.LBB2_5:                                ;   in Loop: Header=BB2_6 Depth=1
	s_or_b64 exec, exec, s[24:25]
	v_and_b32_sdwa v9, v24, s40 dst_sel:DWORD dst_unused:UNUSED_PAD src0_sel:BYTE_3 src1_sel:DWORD
	v_lshrrev_b32_e32 v5, 24, v5
	v_and_b32_sdwa v4, v4, s40 dst_sel:DWORD dst_unused:UNUSED_PAD src0_sel:BYTE_3 src1_sel:DWORD
	v_and_or_b32 v5, v5, s40, v8
	v_and_or_b32 v8, v25, s41, v9
	v_and_b32_sdwa v23, v23, s40 dst_sel:DWORD dst_unused:UNUSED_PAD src0_sel:BYTE_3 src1_sel:DWORD
	v_lshlrev_b32_e32 v5, 24, v5
	v_lshlrev_b32_e32 v8, 16, v8
	v_and_or_b32 v4, v7, s41, v4
	v_and_b32_sdwa v21, v21, s40 dst_sel:DWORD dst_unused:UNUSED_PAD src0_sel:BYTE_3 src1_sel:DWORD
	v_or_b32_e32 v5, v5, v8
	v_lshlrev_b32_e32 v4, 8, v4
	v_and_or_b32 v7, v22, s41, v23
	v_and_b32_sdwa v2, v2, s40 dst_sel:DWORD dst_unused:UNUSED_PAD src0_sel:BYTE_3 src1_sel:DWORD
	v_or3_b32 v5, v5, v4, v7
	v_lshlrev_b32_e32 v4, 24, v6
	v_and_or_b32 v6, v20, s41, v21
	v_and_b32_sdwa v19, v19, s40 dst_sel:DWORD dst_unused:UNUSED_PAD src0_sel:BYTE_3 src1_sel:DWORD
	v_and_b32_e32 v3, 0x80000000, v3
	v_lshlrev_b32_e32 v6, 16, v6
	v_and_or_b32 v2, v17, s41, v2
	v_lshlrev_b32_e32 v2, 8, v2
	v_or3_b32 v3, v3, v4, v6
	v_and_or_b32 v4, v18, s41, v19
	v_add_u32_e32 v16, s30, v16
	v_or3_b32 v4, v3, v2, v4
	v_cmp_ge_i32_e32 vcc, v16, v11
	global_store_dwordx2 v[14:15], v[4:5], off
	v_lshl_add_u64 v[12:13], v[12:13], 0, s[16:17]
	s_or_b64 s[22:23], vcc, s[22:23]
	v_lshl_add_u64 v[14:15], v[14:15], 0, s[20:21]
	s_andn2_b64 exec, exec, s[22:23]
	s_cbranch_execz .LBB2_53
.LBB2_6:                                ; =>This Inner Loop Header: Depth=1
	v_lshl_add_u64 v[2:3], v[12:13], 0, s[4:5]
	global_load_dwordx4 v[6:9], v[2:3], off
	v_lshl_add_u64 v[2:3], v[12:13], 0, s[18:19]
	global_load_dwordx4 v[2:5], v[2:3], off
	s_waitcnt vmcnt(1)
	v_cvt_f32_f16_e64 v17, -v6
	v_mul_f32_e32 v18, 0x3fb8aa3b, v17
	v_fma_mix_f32 v19, -v6, s31, -v18 op_sel_hi:[1,0,0]
	v_rndne_f32_e32 v20, v18
	v_fma_mix_f32 v19, -v6, s33, v19 op_sel_hi:[1,0,0]
	v_sub_f32_e32 v18, v18, v20
	v_add_f32_e32 v18, v18, v19
	v_cvt_i32_f32_e32 v20, v20
	v_exp_f32_e32 v18, v18
	v_cvt_f32_f16_e32 v19, v6
	v_cmp_ngt_f32_e32 vcc, s34, v17
	v_ldexp_f32 v18, v18, v20
	s_nop 0
	v_cndmask_b32_e32 v18, 0, v18, vcc
	v_cmp_nlt_f32_e32 vcc, s35, v17
	s_nop 1
	v_cndmask_b32_e32 v17, v1, v18, vcc
	v_add_f32_e32 v17, 1.0, v17
	v_div_scale_f32 v18, s[24:25], v17, v17, v19
	v_rcp_f32_e32 v20, v18
	v_div_scale_f32 v21, vcc, v19, v17, v19
	v_fma_f32 v22, -v18, v20, 1.0
	v_fmac_f32_e32 v20, v22, v20
	v_mul_f32_e32 v22, v21, v20
	v_fma_f32 v23, -v18, v22, v21
	v_fmac_f32_e32 v22, v23, v20
	v_fma_f32 v18, -v18, v22, v21
	v_div_fmas_f32 v18, v18, v20, v22
	v_div_fixup_f32 v17, v18, v17, v19
	v_cvt_f16_f32_e32 v17, v17
	s_waitcnt vmcnt(0)
	v_mul_f16_e32 v17, v2, v17
	v_cvt_f32_f16_e32 v18, v17
	v_mov_b32_e32 v17, 0x7f
	v_mul_f32_e32 v18, v10, v18
	v_min_f32_e32 v18, 0x43e00000, v18
	v_max_f32_e32 v19, 0xc3e00000, v18
	v_and_b32_e32 v20, 0x7fffffff, v19
	v_cmp_gt_u32_e32 vcc, s36, v20
	v_mov_b32_e32 v18, 0x7f
	s_and_saveexec_b64 s[24:25], vcc
	s_cbranch_execz .LBB2_12
; %bb.7:                                ;   in Loop: Header=BB2_6 Depth=1
	v_cmp_lt_u32_e32 vcc, s37, v20
                                        ; implicit-def: $vgpr18
	s_and_saveexec_b64 s[26:27], vcc
	s_xor_b64 s[26:27], exec, s[26:27]
; %bb.8:                                ;   in Loop: Header=BB2_6 Depth=1
	v_bfe_u32 v18, v19, 20, 1
	v_add3_u32 v18, v19, v18, s38
	v_lshrrev_b32_e32 v18, 20, v18
; %bb.9:                                ;   in Loop: Header=BB2_6 Depth=1
	s_andn2_saveexec_b64 s[26:27], s[26:27]
; %bb.10:                               ;   in Loop: Header=BB2_6 Depth=1
	v_add_f32_e64 v18, |v19|, s39
; %bb.11:                               ;   in Loop: Header=BB2_6 Depth=1
	s_or_b64 exec, exec, s[26:27]
.LBB2_12:                               ;   in Loop: Header=BB2_6 Depth=1
	s_or_b64 exec, exec, s[24:25]
	v_cvt_f32_f16_sdwa v20, -v6 dst_sel:DWORD dst_unused:UNUSED_PAD src0_sel:WORD_1
	v_mul_f32_e32 v21, 0x3fb8aa3b, v20
	v_rndne_f32_e32 v22, v21
	v_fma_mix_f32 v23, -v6, s31, -v21 op_sel:[1,0,0] op_sel_hi:[1,0,0]
	v_sub_f32_e32 v21, v21, v22
	v_fma_mix_f32 v23, -v6, s33, v23 op_sel:[1,0,0] op_sel_hi:[1,0,0]
	v_cvt_i32_f32_e32 v22, v22
	v_add_f32_e32 v21, v21, v23
	v_exp_f32_e32 v21, v21
	v_cvt_f32_f16_sdwa v6, v6 dst_sel:DWORD dst_unused:UNUSED_PAD src0_sel:WORD_1
	v_cmp_ngt_f32_e32 vcc, s34, v20
	v_ldexp_f32 v21, v21, v22
	s_nop 0
	v_cndmask_b32_e32 v21, 0, v21, vcc
	v_cmp_nlt_f32_e32 vcc, s35, v20
	s_nop 1
	v_cndmask_b32_e32 v20, v1, v21, vcc
	v_add_f32_e32 v20, 1.0, v20
	v_div_scale_f32 v21, s[24:25], v20, v20, v6
	v_rcp_f32_e32 v22, v21
	v_div_scale_f32 v23, vcc, v6, v20, v6
	v_fma_f32 v24, -v21, v22, 1.0
	v_fmac_f32_e32 v22, v24, v22
	v_mul_f32_e32 v24, v23, v22
	v_fma_f32 v25, -v21, v24, v23
	v_fmac_f32_e32 v24, v25, v22
	v_fma_f32 v21, -v21, v24, v23
	v_div_fmas_f32 v21, v21, v22, v24
	v_div_fixup_f32 v6, v21, v20, v6
	v_cvt_f16_f32_e32 v6, v6
	v_mul_f16_sdwa v2, v2, v6 dst_sel:DWORD dst_unused:UNUSED_PAD src0_sel:WORD_1 src1_sel:DWORD
	v_cvt_f32_f16_e32 v2, v2
	v_mul_f32_e32 v2, v10, v2
	v_min_f32_e32 v2, 0x43e00000, v2
	v_max_f32_e32 v2, 0xc3e00000, v2
	v_and_b32_e32 v6, 0x7fffffff, v2
	v_cmp_gt_u32_e32 vcc, s36, v6
	s_and_saveexec_b64 s[24:25], vcc
	s_cbranch_execz .LBB2_18
; %bb.13:                               ;   in Loop: Header=BB2_6 Depth=1
	v_cmp_lt_u32_e32 vcc, s37, v6
                                        ; implicit-def: $vgpr17
	s_and_saveexec_b64 s[26:27], vcc
	s_xor_b64 s[26:27], exec, s[26:27]
; %bb.14:                               ;   in Loop: Header=BB2_6 Depth=1
	v_bfe_u32 v6, v2, 20, 1
	v_add3_u32 v6, v2, v6, s38
	v_lshrrev_b32_e32 v17, 20, v6
; %bb.15:                               ;   in Loop: Header=BB2_6 Depth=1
	s_andn2_saveexec_b64 s[26:27], s[26:27]
; %bb.16:                               ;   in Loop: Header=BB2_6 Depth=1
	v_add_f32_e64 v17, |v2|, s39
; %bb.17:                               ;   in Loop: Header=BB2_6 Depth=1
	s_or_b64 exec, exec, s[26:27]
.LBB2_18:                               ;   in Loop: Header=BB2_6 Depth=1
	s_or_b64 exec, exec, s[24:25]
	v_cvt_f32_f16_e64 v6, -v7
	v_mul_f32_e32 v20, 0x3fb8aa3b, v6
	v_rndne_f32_e32 v21, v20
	v_fma_mix_f32 v22, -v7, s31, -v20 op_sel_hi:[1,0,0]
	v_sub_f32_e32 v20, v20, v21
	v_fma_mix_f32 v22, -v7, s33, v22 op_sel_hi:[1,0,0]
	v_cvt_i32_f32_e32 v21, v21
	v_add_f32_e32 v20, v20, v22
	v_exp_f32_e32 v20, v20
	v_cvt_f32_f16_e32 v22, v7
	v_cmp_ngt_f32_e32 vcc, s34, v6
	v_ldexp_f32 v20, v20, v21
	s_nop 0
	v_cndmask_b32_e32 v20, 0, v20, vcc
	v_cmp_nlt_f32_e32 vcc, s35, v6
	s_nop 1
	v_cndmask_b32_e32 v6, v1, v20, vcc
	v_add_f32_e32 v6, 1.0, v6
	v_div_scale_f32 v20, s[24:25], v6, v6, v22
	v_rcp_f32_e32 v21, v20
	v_div_scale_f32 v23, vcc, v22, v6, v22
	v_fma_f32 v24, -v20, v21, 1.0
	v_fmac_f32_e32 v21, v24, v21
	v_mul_f32_e32 v24, v23, v21
	v_fma_f32 v25, -v20, v24, v23
	v_fmac_f32_e32 v24, v25, v21
	v_fma_f32 v20, -v20, v24, v23
	v_div_fmas_f32 v20, v20, v21, v24
	v_div_fixup_f32 v6, v20, v6, v22
	v_cvt_f16_f32_e32 v6, v6
	v_mul_f16_e32 v6, v3, v6
	v_cvt_f32_f16_e32 v20, v6
	v_mov_b32_e32 v6, 0x7f
	v_mul_f32_e32 v20, v10, v20
	v_min_f32_e32 v20, 0x43e00000, v20
	v_max_f32_e32 v21, 0xc3e00000, v20
	v_and_b32_e32 v22, 0x7fffffff, v21
	v_cmp_gt_u32_e32 vcc, s36, v22
	v_mov_b32_e32 v20, 0x7f
	s_and_saveexec_b64 s[24:25], vcc
	s_cbranch_execz .LBB2_24
; %bb.19:                               ;   in Loop: Header=BB2_6 Depth=1
	v_cmp_lt_u32_e32 vcc, s37, v22
                                        ; implicit-def: $vgpr20
	s_and_saveexec_b64 s[26:27], vcc
	s_xor_b64 s[26:27], exec, s[26:27]
; %bb.20:                               ;   in Loop: Header=BB2_6 Depth=1
	v_bfe_u32 v20, v21, 20, 1
	v_add3_u32 v20, v21, v20, s38
	v_lshrrev_b32_e32 v20, 20, v20
; %bb.21:                               ;   in Loop: Header=BB2_6 Depth=1
	s_andn2_saveexec_b64 s[26:27], s[26:27]
; %bb.22:                               ;   in Loop: Header=BB2_6 Depth=1
	v_add_f32_e64 v20, |v21|, s39
; %bb.23:                               ;   in Loop: Header=BB2_6 Depth=1
	s_or_b64 exec, exec, s[26:27]
.LBB2_24:                               ;   in Loop: Header=BB2_6 Depth=1
	s_or_b64 exec, exec, s[24:25]
	v_cvt_f32_f16_sdwa v22, -v7 dst_sel:DWORD dst_unused:UNUSED_PAD src0_sel:WORD_1
	v_mul_f32_e32 v23, 0x3fb8aa3b, v22
	v_rndne_f32_e32 v24, v23
	v_fma_mix_f32 v25, -v7, s31, -v23 op_sel:[1,0,0] op_sel_hi:[1,0,0]
	v_sub_f32_e32 v23, v23, v24
	v_fma_mix_f32 v25, -v7, s33, v25 op_sel:[1,0,0] op_sel_hi:[1,0,0]
	v_cvt_i32_f32_e32 v24, v24
	v_add_f32_e32 v23, v23, v25
	v_exp_f32_e32 v23, v23
	v_cvt_f32_f16_sdwa v7, v7 dst_sel:DWORD dst_unused:UNUSED_PAD src0_sel:WORD_1
	v_cmp_ngt_f32_e32 vcc, s34, v22
	v_ldexp_f32 v23, v23, v24
	s_nop 0
	v_cndmask_b32_e32 v23, 0, v23, vcc
	v_cmp_nlt_f32_e32 vcc, s35, v22
	s_nop 1
	v_cndmask_b32_e32 v22, v1, v23, vcc
	v_add_f32_e32 v22, 1.0, v22
	v_div_scale_f32 v23, s[24:25], v22, v22, v7
	v_rcp_f32_e32 v24, v23
	v_div_scale_f32 v25, vcc, v7, v22, v7
	v_fma_f32 v26, -v23, v24, 1.0
	v_fmac_f32_e32 v24, v26, v24
	v_mul_f32_e32 v26, v25, v24
	v_fma_f32 v27, -v23, v26, v25
	v_fmac_f32_e32 v26, v27, v24
	v_fma_f32 v23, -v23, v26, v25
	v_div_fmas_f32 v23, v23, v24, v26
	v_div_fixup_f32 v7, v23, v22, v7
	v_cvt_f16_f32_e32 v7, v7
	v_mul_f16_sdwa v3, v3, v7 dst_sel:DWORD dst_unused:UNUSED_PAD src0_sel:WORD_1 src1_sel:DWORD
	v_cvt_f32_f16_e32 v3, v3
	v_mul_f32_e32 v3, v10, v3
	v_min_f32_e32 v3, 0x43e00000, v3
	v_max_f32_e32 v3, 0xc3e00000, v3
	v_and_b32_e32 v7, 0x7fffffff, v3
	v_cmp_gt_u32_e32 vcc, s36, v7
	s_and_saveexec_b64 s[24:25], vcc
	s_cbranch_execz .LBB2_30
; %bb.25:                               ;   in Loop: Header=BB2_6 Depth=1
	v_cmp_lt_u32_e32 vcc, s37, v7
                                        ; implicit-def: $vgpr6
	s_and_saveexec_b64 s[26:27], vcc
	s_xor_b64 s[26:27], exec, s[26:27]
; %bb.26:                               ;   in Loop: Header=BB2_6 Depth=1
	v_bfe_u32 v6, v3, 20, 1
	v_add3_u32 v6, v3, v6, s38
	v_lshrrev_b32_e32 v6, 20, v6
; %bb.27:                               ;   in Loop: Header=BB2_6 Depth=1
	s_andn2_saveexec_b64 s[26:27], s[26:27]
; %bb.28:                               ;   in Loop: Header=BB2_6 Depth=1
	v_add_f32_e64 v6, |v3|, s39
; %bb.29:                               ;   in Loop: Header=BB2_6 Depth=1
	s_or_b64 exec, exec, s[26:27]
.LBB2_30:                               ;   in Loop: Header=BB2_6 Depth=1
	s_or_b64 exec, exec, s[24:25]
	v_cvt_f32_f16_e64 v7, -v8
	v_mul_f32_e32 v22, 0x3fb8aa3b, v7
	v_rndne_f32_e32 v23, v22
	v_fma_mix_f32 v24, -v8, s31, -v22 op_sel_hi:[1,0,0]
	v_sub_f32_e32 v22, v22, v23
	v_fma_mix_f32 v24, -v8, s33, v24 op_sel_hi:[1,0,0]
	v_cvt_i32_f32_e32 v23, v23
	v_add_f32_e32 v22, v22, v24
	v_exp_f32_e32 v22, v22
	v_cvt_f32_f16_e32 v24, v8
	v_cmp_ngt_f32_e32 vcc, s34, v7
	v_ldexp_f32 v22, v22, v23
	s_nop 0
	v_cndmask_b32_e32 v22, 0, v22, vcc
	v_cmp_nlt_f32_e32 vcc, s35, v7
	s_nop 1
	v_cndmask_b32_e32 v7, v1, v22, vcc
	v_add_f32_e32 v7, 1.0, v7
	v_div_scale_f32 v22, s[24:25], v7, v7, v24
	v_rcp_f32_e32 v23, v22
	v_div_scale_f32 v25, vcc, v24, v7, v24
	v_fma_f32 v26, -v22, v23, 1.0
	v_fmac_f32_e32 v23, v26, v23
	v_mul_f32_e32 v26, v25, v23
	v_fma_f32 v27, -v22, v26, v25
	v_fmac_f32_e32 v26, v27, v23
	v_fma_f32 v22, -v22, v26, v25
	v_div_fmas_f32 v22, v22, v23, v26
	v_div_fixup_f32 v7, v22, v7, v24
	v_cvt_f16_f32_e32 v7, v7
	v_mul_f16_e32 v7, v4, v7
	v_cvt_f32_f16_e32 v22, v7
	v_mov_b32_e32 v7, 0x7f
	v_mul_f32_e32 v22, v10, v22
	v_min_f32_e32 v22, 0x43e00000, v22
	v_max_f32_e32 v23, 0xc3e00000, v22
	v_and_b32_e32 v24, 0x7fffffff, v23
	v_cmp_gt_u32_e32 vcc, s36, v24
	v_mov_b32_e32 v22, 0x7f
	s_and_saveexec_b64 s[24:25], vcc
	s_cbranch_execz .LBB2_36
; %bb.31:                               ;   in Loop: Header=BB2_6 Depth=1
	v_cmp_lt_u32_e32 vcc, s37, v24
                                        ; implicit-def: $vgpr22
	s_and_saveexec_b64 s[26:27], vcc
	s_xor_b64 s[26:27], exec, s[26:27]
; %bb.32:                               ;   in Loop: Header=BB2_6 Depth=1
	v_bfe_u32 v22, v23, 20, 1
	v_add3_u32 v22, v23, v22, s38
	v_lshrrev_b32_e32 v22, 20, v22
; %bb.33:                               ;   in Loop: Header=BB2_6 Depth=1
	s_andn2_saveexec_b64 s[26:27], s[26:27]
; %bb.34:                               ;   in Loop: Header=BB2_6 Depth=1
	v_add_f32_e64 v22, |v23|, s39
; %bb.35:                               ;   in Loop: Header=BB2_6 Depth=1
	s_or_b64 exec, exec, s[26:27]
.LBB2_36:                               ;   in Loop: Header=BB2_6 Depth=1
	s_or_b64 exec, exec, s[24:25]
	v_cvt_f32_f16_sdwa v24, -v8 dst_sel:DWORD dst_unused:UNUSED_PAD src0_sel:WORD_1
	v_mul_f32_e32 v25, 0x3fb8aa3b, v24
	v_rndne_f32_e32 v26, v25
	v_fma_mix_f32 v27, -v8, s31, -v25 op_sel:[1,0,0] op_sel_hi:[1,0,0]
	v_sub_f32_e32 v25, v25, v26
	v_fma_mix_f32 v27, -v8, s33, v27 op_sel:[1,0,0] op_sel_hi:[1,0,0]
	v_cvt_i32_f32_e32 v26, v26
	v_add_f32_e32 v25, v25, v27
	v_exp_f32_e32 v25, v25
	v_cvt_f32_f16_sdwa v8, v8 dst_sel:DWORD dst_unused:UNUSED_PAD src0_sel:WORD_1
	v_cmp_ngt_f32_e32 vcc, s34, v24
	v_ldexp_f32 v25, v25, v26
	s_nop 0
	v_cndmask_b32_e32 v25, 0, v25, vcc
	v_cmp_nlt_f32_e32 vcc, s35, v24
	s_nop 1
	v_cndmask_b32_e32 v24, v1, v25, vcc
	v_add_f32_e32 v24, 1.0, v24
	v_div_scale_f32 v25, s[24:25], v24, v24, v8
	v_rcp_f32_e32 v26, v25
	v_div_scale_f32 v27, vcc, v8, v24, v8
	v_fma_f32 v28, -v25, v26, 1.0
	v_fmac_f32_e32 v26, v28, v26
	v_mul_f32_e32 v28, v27, v26
	v_fma_f32 v29, -v25, v28, v27
	v_fmac_f32_e32 v28, v29, v26
	v_fma_f32 v25, -v25, v28, v27
	v_div_fmas_f32 v25, v25, v26, v28
	v_div_fixup_f32 v8, v25, v24, v8
	v_cvt_f16_f32_e32 v8, v8
	v_mul_f16_sdwa v4, v4, v8 dst_sel:DWORD dst_unused:UNUSED_PAD src0_sel:WORD_1 src1_sel:DWORD
	v_cvt_f32_f16_e32 v4, v4
	v_mul_f32_e32 v4, v10, v4
	v_min_f32_e32 v4, 0x43e00000, v4
	v_max_f32_e32 v4, 0xc3e00000, v4
	v_and_b32_e32 v8, 0x7fffffff, v4
	v_cmp_gt_u32_e32 vcc, s36, v8
	s_and_saveexec_b64 s[24:25], vcc
	s_cbranch_execz .LBB2_42
; %bb.37:                               ;   in Loop: Header=BB2_6 Depth=1
	v_cmp_lt_u32_e32 vcc, s37, v8
                                        ; implicit-def: $vgpr7
	s_and_saveexec_b64 s[26:27], vcc
	s_xor_b64 s[26:27], exec, s[26:27]
; %bb.38:                               ;   in Loop: Header=BB2_6 Depth=1
	v_bfe_u32 v7, v4, 20, 1
	v_add3_u32 v7, v4, v7, s38
	v_lshrrev_b32_e32 v7, 20, v7
; %bb.39:                               ;   in Loop: Header=BB2_6 Depth=1
	s_andn2_saveexec_b64 s[26:27], s[26:27]
; %bb.40:                               ;   in Loop: Header=BB2_6 Depth=1
	v_add_f32_e64 v7, |v4|, s39
; %bb.41:                               ;   in Loop: Header=BB2_6 Depth=1
	s_or_b64 exec, exec, s[26:27]
.LBB2_42:                               ;   in Loop: Header=BB2_6 Depth=1
	s_or_b64 exec, exec, s[24:25]
	v_cvt_f32_f16_e64 v8, -v9
	v_mul_f32_e32 v24, 0x3fb8aa3b, v8
	v_rndne_f32_e32 v25, v24
	v_fma_mix_f32 v26, -v9, s31, -v24 op_sel_hi:[1,0,0]
	v_sub_f32_e32 v24, v24, v25
	v_fma_mix_f32 v26, -v9, s33, v26 op_sel_hi:[1,0,0]
	v_cvt_i32_f32_e32 v25, v25
	v_add_f32_e32 v24, v24, v26
	v_exp_f32_e32 v24, v24
	v_cvt_f32_f16_e32 v26, v9
	v_cmp_ngt_f32_e32 vcc, s34, v8
	v_ldexp_f32 v24, v24, v25
	s_nop 0
	v_cndmask_b32_e32 v24, 0, v24, vcc
	v_cmp_nlt_f32_e32 vcc, s35, v8
	s_nop 1
	v_cndmask_b32_e32 v8, v1, v24, vcc
	v_add_f32_e32 v8, 1.0, v8
	v_div_scale_f32 v24, s[24:25], v8, v8, v26
	v_rcp_f32_e32 v25, v24
	v_div_scale_f32 v27, vcc, v26, v8, v26
	v_fma_f32 v28, -v24, v25, 1.0
	v_fmac_f32_e32 v25, v28, v25
	v_mul_f32_e32 v28, v27, v25
	v_fma_f32 v29, -v24, v28, v27
	v_fmac_f32_e32 v28, v29, v25
	v_fma_f32 v24, -v24, v28, v27
	v_div_fmas_f32 v24, v24, v25, v28
	v_div_fixup_f32 v8, v24, v8, v26
	v_cvt_f16_f32_e32 v8, v8
	v_mov_b32_e32 v25, 0x7f
	v_mul_f16_e32 v8, v5, v8
	v_cvt_f32_f16_e32 v24, v8
	v_mov_b32_e32 v8, 0x7f
	v_mul_f32_e32 v24, v10, v24
	v_min_f32_e32 v24, 0x43e00000, v24
	v_max_f32_e32 v24, 0xc3e00000, v24
	v_and_b32_e32 v26, 0x7fffffff, v24
	v_cmp_gt_u32_e32 vcc, s36, v26
	s_and_saveexec_b64 s[24:25], vcc
	s_cbranch_execz .LBB2_48
; %bb.43:                               ;   in Loop: Header=BB2_6 Depth=1
	v_cmp_lt_u32_e32 vcc, s37, v26
                                        ; implicit-def: $vgpr25
	s_and_saveexec_b64 s[26:27], vcc
	s_xor_b64 s[26:27], exec, s[26:27]
; %bb.44:                               ;   in Loop: Header=BB2_6 Depth=1
	v_bfe_u32 v25, v24, 20, 1
	v_add3_u32 v25, v24, v25, s38
	v_lshrrev_b32_e32 v25, 20, v25
; %bb.45:                               ;   in Loop: Header=BB2_6 Depth=1
	s_andn2_saveexec_b64 s[26:27], s[26:27]
; %bb.46:                               ;   in Loop: Header=BB2_6 Depth=1
	v_add_f32_e64 v25, |v24|, s39
; %bb.47:                               ;   in Loop: Header=BB2_6 Depth=1
	s_or_b64 exec, exec, s[26:27]
.LBB2_48:                               ;   in Loop: Header=BB2_6 Depth=1
	s_or_b64 exec, exec, s[24:25]
	v_cvt_f32_f16_sdwa v26, -v9 dst_sel:DWORD dst_unused:UNUSED_PAD src0_sel:WORD_1
	v_mul_f32_e32 v27, 0x3fb8aa3b, v26
	v_rndne_f32_e32 v28, v27
	v_fma_mix_f32 v29, -v9, s31, -v27 op_sel:[1,0,0] op_sel_hi:[1,0,0]
	v_sub_f32_e32 v27, v27, v28
	v_fma_mix_f32 v29, -v9, s33, v29 op_sel:[1,0,0] op_sel_hi:[1,0,0]
	v_cvt_i32_f32_e32 v28, v28
	v_add_f32_e32 v27, v27, v29
	v_exp_f32_e32 v27, v27
	v_cvt_f32_f16_sdwa v9, v9 dst_sel:DWORD dst_unused:UNUSED_PAD src0_sel:WORD_1
	v_cmp_ngt_f32_e32 vcc, s34, v26
	v_ldexp_f32 v27, v27, v28
	s_nop 0
	v_cndmask_b32_e32 v27, 0, v27, vcc
	v_cmp_nlt_f32_e32 vcc, s35, v26
	s_nop 1
	v_cndmask_b32_e32 v26, v1, v27, vcc
	v_add_f32_e32 v26, 1.0, v26
	v_div_scale_f32 v27, s[24:25], v26, v26, v9
	v_rcp_f32_e32 v28, v27
	v_div_scale_f32 v29, vcc, v9, v26, v9
	v_fma_f32 v30, -v27, v28, 1.0
	v_fmac_f32_e32 v28, v30, v28
	v_mul_f32_e32 v30, v29, v28
	v_fma_f32 v31, -v27, v30, v29
	v_fmac_f32_e32 v30, v31, v28
	v_fma_f32 v27, -v27, v30, v29
	v_div_fmas_f32 v27, v27, v28, v30
	v_div_fixup_f32 v9, v27, v26, v9
	v_cvt_f16_f32_e32 v9, v9
	v_mul_f16_sdwa v5, v5, v9 dst_sel:DWORD dst_unused:UNUSED_PAD src0_sel:WORD_1 src1_sel:DWORD
	v_cvt_f32_f16_e32 v5, v5
	v_mul_f32_e32 v5, v10, v5
	v_min_f32_e32 v5, 0x43e00000, v5
	v_max_f32_e32 v5, 0xc3e00000, v5
	v_and_b32_e32 v9, 0x7fffffff, v5
	v_cmp_gt_u32_e32 vcc, s36, v9
	s_and_saveexec_b64 s[24:25], vcc
	s_cbranch_execz .LBB2_5
; %bb.49:                               ;   in Loop: Header=BB2_6 Depth=1
	v_cmp_lt_u32_e32 vcc, s37, v9
                                        ; implicit-def: $vgpr8
	s_and_saveexec_b64 s[26:27], vcc
	s_xor_b64 s[26:27], exec, s[26:27]
; %bb.50:                               ;   in Loop: Header=BB2_6 Depth=1
	v_bfe_u32 v8, v5, 20, 1
	v_add3_u32 v8, v5, v8, s38
	v_lshrrev_b32_e32 v8, 20, v8
; %bb.51:                               ;   in Loop: Header=BB2_6 Depth=1
	s_andn2_saveexec_b64 s[26:27], s[26:27]
	s_cbranch_execz .LBB2_4
; %bb.52:                               ;   in Loop: Header=BB2_6 Depth=1
	v_add_f32_e64 v8, |v5|, s39
	s_branch .LBB2_4
.LBB2_53:
	s_or_b64 exec, exec, s[0:1]
	s_sub_i32 s0, 8, s7
	s_cmp_gt_i32 s6, s0
	s_cbranch_scc0 .LBB2_74
; %bb.54:
	v_add_u32_e32 v0, s0, v0
	v_cmp_gt_i32_e32 vcc, s6, v0
	s_and_saveexec_b64 s[0:1], vcc
	s_cbranch_execz .LBB2_74
; %bb.55:
	s_load_dword s0, s[14:15], 0xc
	s_mov_b32 s15, 0
	v_mov_b32_e32 v1, 0
	s_ashr_i32 s7, s6, 31
	v_mov_b32_e32 v2, s7
	s_waitcnt lgkmcnt(0)
	s_and_b32 s14, s0, 0xffff
	v_lshl_add_u64 v[4:5], s[14:15], 0, v[0:1]
	v_cmp_gt_i64_e32 vcc, s[6:7], v[4:5]
	v_mov_b32_e32 v3, s15
	v_cmp_gt_u16_e64 s[0:1], s0, 1
	v_cndmask_b32_e32 v6, v5, v2, vcc
	v_mov_b32_e32 v2, s6
	v_cndmask_b32_e32 v7, v4, v2, vcc
	v_cndmask_b32_e64 v2, 0, 1, vcc
	v_lshl_add_u64 v[4:5], v[4:5], 0, v[2:3]
	v_sub_co_u32_e32 v8, vcc, v7, v4
	s_and_b64 s[0:1], s[0:1], exec
	s_nop 0
	v_subb_co_u32_e32 v5, vcc, v6, v5, vcc
	v_mov_b32_e32 v4, v1
	s_cselect_b32 s0, 0, 0
	s_cselect_b32 s16, s14, 1
	v_cmp_ne_u64_e32 vcc, 0, v[4:5]
                                        ; implicit-def: $vgpr6_vgpr7
	s_and_saveexec_b64 s[4:5], vcc
	s_xor_b64 s[4:5], exec, s[4:5]
	s_cbranch_execz .LBB2_57
; %bb.56:
	v_cvt_f32_u32_e32 v4, s16
	v_mov_b32_e32 v6, 0x4f800000
	s_sub_u32 s1, 0, s16
	s_subb_u32 s0, 0, s0
	v_fmac_f32_e32 v4, 0, v6
	v_rcp_f32_e32 v4, v4
	s_nop 0
	v_mul_f32_e32 v4, 0x5f7ffffc, v4
	v_mul_f32_e32 v6, 0x2f800000, v4
	v_trunc_f32_e32 v6, v6
	v_fmamk_f32 v4, v6, 0xcf800000, v4
	v_cvt_u32_f32_e32 v9, v6
	v_cvt_u32_f32_e32 v4, v4
	v_mul_lo_u32 v6, s1, v9
	v_mul_hi_u32 v11, s1, v4
	v_mul_lo_u32 v7, s0, v4
	v_add_u32_e32 v11, v11, v6
	v_mul_lo_u32 v14, s1, v4
	v_add_u32_e32 v11, v11, v7
	v_mul_hi_u32 v6, v4, v14
	v_mul_hi_u32 v13, v4, v11
	v_mul_lo_u32 v12, v4, v11
	v_mov_b32_e32 v7, v1
	v_lshl_add_u64 v[6:7], v[6:7], 0, v[12:13]
	v_mul_hi_u32 v13, v9, v14
	v_mul_lo_u32 v14, v9, v14
	v_add_co_u32_e32 v6, vcc, v6, v14
	v_mul_hi_u32 v12, v9, v11
	s_nop 0
	v_addc_co_u32_e32 v6, vcc, v7, v13, vcc
	v_mov_b32_e32 v7, v1
	s_nop 0
	v_addc_co_u32_e32 v13, vcc, 0, v12, vcc
	v_mul_lo_u32 v12, v9, v11
	v_lshl_add_u64 v[6:7], v[6:7], 0, v[12:13]
	v_add_co_u32_e32 v4, vcc, v4, v6
	v_mul_lo_u32 v12, s1, v4
	s_nop 0
	v_addc_co_u32_e32 v9, vcc, v9, v7, vcc
	v_mul_lo_u32 v6, s1, v9
	v_mul_hi_u32 v7, s1, v4
	v_add_u32_e32 v6, v7, v6
	v_mul_lo_u32 v7, s0, v4
	v_add_u32_e32 v11, v6, v7
	v_mul_hi_u32 v15, v9, v12
	v_mul_lo_u32 v16, v9, v12
	v_mul_hi_u32 v7, v4, v11
	v_mul_lo_u32 v6, v4, v11
	v_mul_hi_u32 v12, v4, v12
	v_mov_b32_e32 v13, v1
	v_lshl_add_u64 v[6:7], v[12:13], 0, v[6:7]
	v_add_co_u32_e32 v6, vcc, v6, v16
	v_mul_hi_u32 v14, v9, v11
	s_nop 0
	v_addc_co_u32_e32 v6, vcc, v7, v15, vcc
	v_mul_lo_u32 v12, v9, v11
	s_nop 0
	v_addc_co_u32_e32 v13, vcc, 0, v14, vcc
	v_mov_b32_e32 v7, v1
	v_lshl_add_u64 v[6:7], v[6:7], 0, v[12:13]
	v_add_co_u32_e32 v4, vcc, v4, v6
	v_mul_hi_u32 v12, v8, v4
	s_nop 0
	v_addc_co_u32_e32 v9, vcc, v9, v7, vcc
	v_mad_u64_u32 v[6:7], s[0:1], v8, v9, 0
	v_mov_b32_e32 v13, v1
	v_lshl_add_u64 v[6:7], v[12:13], 0, v[6:7]
	v_mad_u64_u32 v[14:15], s[0:1], v5, v4, 0
	v_add_co_u32_e32 v4, vcc, v6, v14
	v_mad_u64_u32 v[12:13], s[0:1], v5, v9, 0
	s_nop 0
	v_addc_co_u32_e32 v6, vcc, v7, v15, vcc
	v_mov_b32_e32 v7, v1
	s_nop 0
	v_addc_co_u32_e32 v13, vcc, 0, v13, vcc
	v_lshl_add_u64 v[6:7], v[6:7], 0, v[12:13]
	v_mad_u64_u32 v[12:13], s[0:1], s16, v6, 0
	v_mov_b32_e32 v4, v13
	v_mad_u64_u32 v[14:15], s[0:1], s16, v7, v[4:5]
	v_sub_co_u32_e32 v11, vcc, v8, v12
	v_lshl_add_u64 v[8:9], v[6:7], 0, 1
	s_nop 0
	v_subb_co_u32_e32 v12, vcc, v5, v14, vcc
	v_subrev_co_u32_e32 v4, vcc, s16, v11
	v_cmp_le_u32_e64 s[0:1], s16, v11
	s_nop 0
	v_subbrev_co_u32_e32 v5, vcc, 0, v12, vcc
	v_cmp_le_u32_e32 vcc, s16, v4
	s_nop 1
	v_cndmask_b32_e64 v4, 0, -1, vcc
	v_cmp_eq_u32_e32 vcc, 0, v5
	s_nop 1
	v_cndmask_b32_e32 v13, -1, v4, vcc
	v_lshl_add_u64 v[4:5], v[6:7], 0, 2
	v_cmp_ne_u32_e32 vcc, 0, v13
	s_nop 1
	v_cndmask_b32_e32 v5, v9, v5, vcc
	v_cndmask_b32_e64 v9, 0, -1, s[0:1]
	v_cmp_eq_u32_e64 s[0:1], 0, v12
	v_cndmask_b32_e32 v4, v8, v4, vcc
                                        ; implicit-def: $vgpr8
	s_nop 0
	v_cndmask_b32_e64 v9, -1, v9, s[0:1]
	v_cmp_ne_u32_e64 s[0:1], 0, v9
	s_nop 1
	v_cndmask_b32_e64 v7, v7, v5, s[0:1]
	v_cndmask_b32_e64 v6, v6, v4, s[0:1]
.LBB2_57:
	s_andn2_saveexec_b64 s[0:1], s[4:5]
	s_cbranch_execz .LBB2_59
; %bb.58:
	v_cvt_f32_u32_e32 v4, s16
	s_sub_i32 s4, 0, s16
	v_rcp_iflag_f32_e32 v4, v4
	s_nop 0
	v_mul_f32_e32 v4, 0x4f7ffffe, v4
	v_cvt_u32_f32_e32 v4, v4
	v_mul_lo_u32 v5, s4, v4
	v_mul_hi_u32 v5, v4, v5
	v_add_u32_e32 v4, v4, v5
	v_mul_hi_u32 v4, v8, v4
	v_mul_lo_u32 v5, v4, s16
	v_sub_u32_e32 v5, v8, v5
	v_add_u32_e32 v6, 1, v4
	v_subrev_u32_e32 v7, s16, v5
	v_cmp_le_u32_e32 vcc, s16, v5
	s_nop 1
	v_cndmask_b32_e32 v5, v5, v7, vcc
	v_cndmask_b32_e32 v4, v4, v6, vcc
	v_add_u32_e32 v6, 1, v4
	v_cmp_le_u32_e32 vcc, s16, v5
	v_mov_b32_e32 v7, 0
	s_nop 0
	v_cndmask_b32_e32 v6, v4, v6, vcc
.LBB2_59:
	s_or_b64 exec, exec, s[0:1]
	v_lshl_add_u64 v[2:3], v[6:7], 0, v[2:3]
	v_lshl_add_u64 v[2:3], v[2:3], 0, 1
	v_cmp_gt_u64_e32 vcc, 4, v[2:3]
	v_cmp_ne_u16_e64 s[0:1], s14, 1
	s_or_b64 s[18:19], vcc, s[0:1]
	s_mov_b64 s[16:17], 0
                                        ; implicit-def: $sgpr4_sgpr5
                                        ; implicit-def: $sgpr0_sgpr1
	s_and_saveexec_b64 s[20:21], s[18:19]
	s_xor_b64 s[18:19], exec, s[20:21]
; %bb.60:
	s_lshl_b64 s[0:1], s[2:3], 2
	s_or_b32 s0, s0, 2
	s_mul_i32 s4, s0, s29
	s_mul_hi_u32 s5, s0, s28
	s_add_i32 s4, s5, s4
	s_mul_i32 s1, s1, s28
	s_mov_b64 s[16:17], exec
	s_add_i32 s5, s4, s1
	s_mul_i32 s4, s0, s28
	s_lshl_b64 s[0:1], s[12:13], 2
                                        ; implicit-def: $vgpr2_vgpr3
; %bb.61:
	s_or_saveexec_b64 s[18:19], s[18:19]
	v_mov_b64_e32 v[4:5], s[4:5]
	v_mov_b64_e32 v[6:7], s[0:1]
	s_xor_b64 exec, exec, s[18:19]
	s_cbranch_execz .LBB2_65
; %bb.62:
	s_lshl_b64 s[0:1], s[2:3], 2
	s_or_b32 s0, s0, 2
	s_mul_i32 s2, s0, s29
	s_mul_hi_u32 s3, s0, s28
	s_add_i32 s2, s3, s2
	s_mul_i32 s1, s1, s28
	s_lshl_b64 s[20:21], s[12:13], 2
	s_lshl_b32 s22, s14, 3
	s_add_i32 s25, s2, s1
	s_mul_i32 s24, s0, s28
	s_add_u32 s0, s8, s12
	v_and_b32_e32 v4, -4, v2
	v_mov_b32_e32 v5, v3
	v_lshlrev_b32_e32 v6, 1, v0
	s_mov_b32 s23, 0
	v_mov_b32_e32 v7, 0
	s_addc_u32 s1, s9, s13
	v_mov_b32_e32 v11, v10
	v_lshl_add_u64 v[6:7], s[10:11], 0, v[6:7]
	v_lshl_add_u64 v[8:9], s[0:1], 0, v[0:1]
	s_lshl_b32 s26, s14, 2
	s_mov_b32 s27, s23
	s_mov_b64 s[28:29], 0
	s_mov_b32 s31, 0x3fb8aa3b
	s_mov_b32 s33, 0x32a5705f
	s_mov_b32 s34, 0xc2ce8ed0
	s_mov_b32 s35, 0x42b17218
	v_mov_b32_e32 v20, 0x7f800000
	v_mov_b32_e32 v12, v10
	;; [unrolled: 1-line block ×3, first 2 shown]
	s_mov_b32 s36, 0x43f00000
	s_mov_b32 s37, 0x7700000
	;; [unrolled: 1-line block ×4, first 2 shown]
	v_mov_b32_e32 v21, 0x7f
	s_movk_i32 s39, 0x80
	v_mov_b64_e32 v[14:15], v[4:5]
.LBB2_63:                               ; =>This Inner Loop Header: Depth=1
	v_lshl_add_u64 v[16:17], v[6:7], 0, s[20:21]
	v_lshl_add_u64 v[18:19], v[6:7], 0, s[24:25]
	global_load_dwordx2 v[22:23], v[16:17], off
	global_load_dwordx2 v[24:25], v[18:19], off
	v_lshl_add_u64 v[14:15], v[14:15], 0, -4
	v_cmp_eq_u64_e32 vcc, 0, v[14:15]
	s_or_b64 s[28:29], vcc, s[28:29]
	v_lshl_add_u64 v[6:7], v[6:7], 0, s[22:23]
	s_waitcnt vmcnt(1)
	v_cvt_f32_f16_e64 v16, -v23
	v_cvt_f32_f16_sdwa v17, -v23 dst_sel:DWORD dst_unused:UNUSED_PAD src0_sel:WORD_1
	v_cvt_f32_f16_e64 v18, -v22
	v_cvt_f32_f16_sdwa v19, -v22 dst_sel:DWORD dst_unused:UNUSED_PAD src0_sel:WORD_1
	v_mul_f32_e32 v30, 0x3fb8aa3b, v16
	v_mul_f32_e32 v31, 0x3fb8aa3b, v17
	v_fma_mix_f32 v34, -v23, s31, -v30 op_sel_hi:[1,0,0]
	v_rndne_f32_e32 v35, v30
	v_fma_mix_f32 v36, -v23, s31, -v31 op_sel:[1,0,0] op_sel_hi:[1,0,0]
	v_rndne_f32_e32 v37, v31
	v_cvt_f32_f16_sdwa v28, v23 dst_sel:DWORD dst_unused:UNUSED_PAD src0_sel:WORD_1
	v_cvt_f32_f16_e32 v29, v23
	v_mul_f32_e32 v32, 0x3fb8aa3b, v18
	v_mul_f32_e32 v33, 0x3fb8aa3b, v19
	v_fma_mix_f32 v34, -v23, s33, v34 op_sel_hi:[1,0,0]
	v_sub_f32_e32 v30, v30, v35
	v_fma_mix_f32 v23, -v23, s33, v36 op_sel:[1,0,0] op_sel_hi:[1,0,0]
	v_sub_f32_e32 v31, v31, v37
	v_fma_mix_f32 v38, -v22, s31, -v32 op_sel_hi:[1,0,0]
	v_rndne_f32_e32 v39, v32
	v_fma_mix_f32 v40, -v22, s31, -v33 op_sel:[1,0,0] op_sel_hi:[1,0,0]
	v_rndne_f32_e32 v41, v33
	v_add_f32_e32 v30, v30, v34
	v_add_f32_e32 v23, v31, v23
	v_cvt_f32_f16_sdwa v26, v22 dst_sel:DWORD dst_unused:UNUSED_PAD src0_sel:WORD_1
	v_cvt_f32_f16_e32 v27, v22
	v_cvt_i32_f32_e32 v35, v35
	v_cvt_i32_f32_e32 v36, v37
	v_fma_mix_f32 v37, -v22, s33, v38 op_sel_hi:[1,0,0]
	v_sub_f32_e32 v32, v32, v39
	v_fma_mix_f32 v22, -v22, s33, v40 op_sel:[1,0,0] op_sel_hi:[1,0,0]
	v_sub_f32_e32 v33, v33, v41
	v_exp_f32_e32 v30, v30
	v_exp_f32_e32 v23, v23
	v_add_f32_e32 v31, v32, v37
	v_add_f32_e32 v22, v33, v22
	v_cvt_i32_f32_e32 v38, v39
	v_cvt_i32_f32_e32 v39, v41
	v_exp_f32_e32 v31, v31
	v_exp_f32_e32 v22, v22
	v_ldexp_f32 v30, v30, v35
	v_ldexp_f32 v23, v23, v36
	v_cmp_ngt_f32_e32 vcc, s34, v17
	v_cmp_ngt_f32_e64 s[4:5], s34, v16
	v_ldexp_f32 v31, v31, v38
	v_cndmask_b32_e32 v23, 0, v23, vcc
	v_cndmask_b32_e64 v30, 0, v30, s[4:5]
	v_cmp_nlt_f32_e32 vcc, s35, v17
	v_cmp_nlt_f32_e64 s[4:5], s35, v16
	v_cmp_ngt_f32_e64 s[0:1], s34, v18
	v_ldexp_f32 v22, v22, v39
	v_cmp_ngt_f32_e64 s[2:3], s34, v19
	v_cndmask_b32_e64 v16, v20, v30, s[4:5]
	v_cndmask_b32_e32 v17, v20, v23, vcc
	v_cndmask_b32_e64 v31, 0, v31, s[0:1]
	v_cmp_nlt_f32_e64 s[0:1], s35, v18
	v_cndmask_b32_e64 v22, 0, v22, s[2:3]
	v_cmp_nlt_f32_e64 s[2:3], s35, v19
	v_pk_add_f32 v[16:17], v[16:17], 1.0 op_sel_hi:[1,0]
	v_cndmask_b32_e64 v18, v20, v31, s[0:1]
	v_cndmask_b32_e64 v19, v20, v22, s[2:3]
	v_div_scale_f32 v22, s[0:1], v16, v16, v29
	v_pk_add_f32 v[18:19], v[18:19], 1.0 op_sel_hi:[1,0]
	v_div_scale_f32 v30, s[0:1], v17, v17, v28
	v_rcp_f32_e32 v36, v22
	v_div_scale_f32 v32, s[2:3], v18, v18, v27
	v_rcp_f32_e32 v37, v30
	;; [unrolled: 2-line block ×3, first 2 shown]
	v_rcp_f32_e32 v39, v34
	v_fma_f32 v40, -v22, v36, 1.0
	v_div_scale_f32 v23, vcc, v29, v16, v29
	v_fma_f32 v41, -v30, v37, 1.0
	v_fmac_f32_e32 v36, v40, v36
	v_div_scale_f32 v31, s[0:1], v28, v17, v28
	v_fma_f32 v42, -v32, v38, 1.0
	v_fmac_f32_e32 v37, v41, v37
	v_mul_f32_e32 v40, v23, v36
	v_div_scale_f32 v33, s[2:3], v27, v18, v27
	v_fma_f32 v43, -v34, v39, 1.0
	v_fmac_f32_e32 v38, v42, v38
	v_mul_f32_e32 v41, v31, v37
	v_fma_f32 v44, -v22, v40, v23
	v_div_scale_f32 v35, s[4:5], v26, v19, v26
	v_fmac_f32_e32 v39, v43, v39
	v_mul_f32_e32 v42, v33, v38
	v_fma_f32 v45, -v30, v41, v31
	v_fmac_f32_e32 v40, v44, v36
	v_mul_f32_e32 v43, v35, v39
	v_fma_f32 v46, -v32, v42, v33
	v_fmac_f32_e32 v41, v45, v37
	v_fma_f32 v22, -v22, v40, v23
	v_fma_f32 v47, -v34, v43, v35
	v_fmac_f32_e32 v42, v46, v38
	v_fma_f32 v23, -v30, v41, v31
	v_div_fmas_f32 v22, v22, v36, v40
	s_mov_b64 vcc, s[0:1]
	v_fmac_f32_e32 v43, v47, v39
	v_fma_f32 v30, -v32, v42, v33
	v_div_fixup_f32 v16, v22, v16, v29
	v_div_fmas_f32 v22, v23, v37, v41
	s_mov_b64 vcc, s[2:3]
	v_fma_f32 v31, -v34, v43, v35
	v_div_fixup_f32 v17, v22, v17, v28
	v_div_fmas_f32 v22, v30, v38, v42
	s_mov_b64 vcc, s[4:5]
	v_cvt_f16_f32_e32 v16, v16
	v_div_fixup_f32 v18, v22, v18, v27
	v_div_fmas_f32 v22, v31, v39, v43
	v_cvt_f16_f32_e32 v17, v17
	v_div_fixup_f32 v19, v22, v19, v26
	v_cvt_f16_f32_e32 v18, v18
	v_cvt_f16_f32_e32 v19, v19
	v_pack_b32_f16 v16, v16, v17
	s_waitcnt vmcnt(0)
	v_pk_mul_f16 v17, v25, v16
	v_pack_b32_f16 v18, v18, v19
	v_cvt_f32_f16_e32 v16, v17
	v_cvt_f32_f16_sdwa v17, v17 dst_sel:DWORD dst_unused:UNUSED_PAD src0_sel:WORD_1
	v_pk_mul_f16 v19, v24, v18
	v_pk_mul_f32 v[16:17], v[12:13], v[16:17]
	v_cvt_f32_f16_e32 v18, v19
	v_cvt_f32_f16_sdwa v19, v19 dst_sel:DWORD dst_unused:UNUSED_PAD src0_sel:WORD_1
	v_min_f32_e32 v22, 0x43e00000, v17
	v_min_f32_e32 v23, 0x43e00000, v16
	v_pk_mul_f32 v[16:17], v[10:11], v[18:19]
	v_max_f32_e32 v19, 0xc3e00000, v22
	v_max_f32_e32 v18, 0xc3e00000, v23
	v_min_f32_e32 v22, 0x43e00000, v17
	v_bfe_u32 v24, v19, 20, 1
	v_min_f32_e32 v23, 0x43e00000, v16
	v_and_b32_e32 v17, 0x7fffffff, v19
	v_and_b32_e32 v16, 0x7fffffff, v18
	v_bfe_u32 v25, v18, 20, 1
	v_max_f32_e32 v29, 0xc3e00000, v22
	v_add3_u32 v24, v19, v24, s38
	v_max_f32_e32 v28, 0xc3e00000, v23
	v_add_u32_e32 v30, 0xc3800000, v16
	v_add_u32_e32 v31, 0xc3800000, v17
	v_add3_u32 v25, v18, v25, s38
	v_and_b32_e32 v23, 0x7fffffff, v29
	v_lshrrev_b32_e32 v32, 20, v24
	v_bfe_u32 v24, v29, 20, 1
	v_lshrrev_b32_e32 v26, 24, v19
	v_lshrrev_b32_e32 v27, 24, v18
	v_pk_add_f32 v[18:19], v[16:17], s[30:31] op_sel_hi:[1,0]
	v_and_b32_e32 v22, 0x7fffffff, v28
	v_cmp_gt_u32_e32 vcc, s37, v31
	v_bfe_u32 v31, v28, 20, 1
	v_lshrrev_b32_e32 v25, 20, v25
	v_lshrrev_b32_e32 v33, 24, v29
	v_cmp_gt_u32_e64 s[0:1], s37, v30
	v_add_u32_e32 v30, 0xc3800000, v23
	v_add3_u32 v29, v29, v24, s38
	v_lshrrev_b32_e32 v34, 24, v28
	v_cndmask_b32_e64 v18, v18, v25, s[0:1]
	v_cmp_gt_u32_e64 s[0:1], s36, v16
	v_add_u32_e32 v16, 0xc3800000, v22
	v_add3_u32 v28, v28, v31, s38
	v_pk_add_f32 v[24:25], v[22:23], s[30:31] op_sel_hi:[1,0]
	v_cndmask_b32_e32 v19, v19, v32, vcc
	v_cmp_gt_u32_e32 vcc, s36, v17
	v_lshrrev_b32_e32 v17, 20, v29
	v_cmp_gt_u32_e64 s[2:3], s37, v30
	v_lshrrev_b32_e32 v28, 20, v28
	v_cndmask_b32_e32 v19, v21, v19, vcc
	v_cndmask_b32_e64 v18, v21, v18, s[0:1]
	v_cmp_gt_u32_e32 vcc, s37, v16
	v_cndmask_b32_e64 v17, v25, v17, s[2:3]
	v_cmp_gt_u32_e64 s[0:1], s36, v23
	v_cndmask_b32_e32 v16, v24, v28, vcc
	v_cmp_gt_u32_e32 vcc, s36, v22
	v_cndmask_b32_e64 v17, v21, v17, s[0:1]
	v_and_or_b32 v19, v26, s39, v19
	v_cndmask_b32_e32 v16, v21, v16, vcc
	v_and_or_b32 v17, v33, s39, v17
	v_and_or_b32 v18, v27, s39, v18
	v_lshlrev_b16_e32 v19, 8, v19
	v_and_or_b32 v16, v34, s39, v16
	v_lshlrev_b16_e32 v17, 8, v17
	v_or_b32_sdwa v18, v18, v19 dst_sel:WORD_1 dst_unused:UNUSED_PAD src0_sel:BYTE_0 src1_sel:DWORD
	v_or_b32_sdwa v16, v16, v17 dst_sel:DWORD dst_unused:UNUSED_PAD src0_sel:BYTE_0 src1_sel:DWORD
	v_or_b32_sdwa v16, v16, v18 dst_sel:DWORD dst_unused:UNUSED_PAD src0_sel:WORD_0 src1_sel:DWORD
	global_store_dword v[8:9], v16, off
	v_lshl_add_u64 v[8:9], v[8:9], 0, s[26:27]
	s_andn2_b64 exec, exec, s[28:29]
	s_cbranch_execnz .LBB2_63
; %bb.64:
	s_or_b64 exec, exec, s[28:29]
	v_mad_u64_u32 v[0:1], s[0:1], v4, s14, v[0:1]
	v_mov_b32_e32 v6, v1
	v_mad_u64_u32 v[6:7], s[0:1], v5, s14, v[6:7]
	v_cmp_ne_u64_e32 vcc, v[2:3], v[4:5]
	s_andn2_b64 s[0:1], s[16:17], exec
	s_and_b64 s[2:3], vcc, exec
	v_mov_b32_e32 v1, v6
	v_mov_b64_e32 v[4:5], s[24:25]
	v_mov_b64_e32 v[6:7], s[20:21]
	s_or_b64 s[16:17], s[0:1], s[2:3]
.LBB2_65:
	s_or_b64 exec, exec, s[18:19]
	s_and_b64 exec, exec, s[16:17]
	s_cbranch_execz .LBB2_74
; %bb.66:
	s_add_u32 s0, s8, s12
	s_addc_u32 s1, s9, s13
	v_lshl_add_u64 v[2:3], v[0:1], 1, s[10:11]
	s_lshl_b32 s2, s14, 1
	s_mov_b32 s3, 0
	s_mov_b64 s[4:5], 0
	s_mov_b32 s12, 0x3fb8aa3b
	s_mov_b32 s13, 0x32a5705f
	;; [unrolled: 1-line block ×4, first 2 shown]
	v_mov_b32_e32 v8, 0x7f800000
	s_mov_b32 s18, 0x43f00000
	s_mov_b32 s19, 0x3c7fffff
	s_mov_b32 s20, 0x407ffff
	s_mov_b32 s21, 0x46800000
	s_movk_i32 s22, 0x80
	s_branch .LBB2_69
.LBB2_67:                               ;   in Loop: Header=BB2_69 Depth=1
	s_or_b64 exec, exec, s[10:11]
.LBB2_68:                               ;   in Loop: Header=BB2_69 Depth=1
	s_or_b64 exec, exec, s[8:9]
	v_lshl_add_u64 v[12:13], s[0:1], 0, v[0:1]
	v_lshl_add_u64 v[0:1], v[0:1], 0, s[14:15]
	v_lshrrev_b32_e32 v9, 24, v9
	v_cmp_le_i64_e32 vcc, s[6:7], v[0:1]
	v_and_or_b32 v9, v9, s22, v11
	s_or_b64 s[4:5], vcc, s[4:5]
	v_lshl_add_u64 v[2:3], v[2:3], 0, s[2:3]
	global_store_byte v[12:13], v9, off
	s_andn2_b64 exec, exec, s[4:5]
	s_cbranch_execz .LBB2_74
.LBB2_69:                               ; =>This Inner Loop Header: Depth=1
	v_lshl_add_u64 v[12:13], v[2:3], 0, v[6:7]
	global_load_ushort v9, v[12:13], off
	v_lshl_add_u64 v[12:13], v[2:3], 0, v[4:5]
	global_load_ushort v11, v[12:13], off
	s_waitcnt vmcnt(1)
	v_cvt_f32_f16_e64 v12, -v9
	v_mul_f32_e32 v13, 0x3fb8aa3b, v12
	v_fma_mix_f32 v14, -v9, s12, -v13 op_sel_hi:[1,0,0]
	v_rndne_f32_e32 v15, v13
	v_fma_mix_f32 v14, -v9, s13, v14 op_sel_hi:[1,0,0]
	v_sub_f32_e32 v13, v13, v15
	v_add_f32_e32 v13, v13, v14
	v_cvt_i32_f32_e32 v15, v15
	v_exp_f32_e32 v13, v13
	v_cvt_f32_f16_e32 v9, v9
	v_cmp_ngt_f32_e32 vcc, s16, v12
	v_ldexp_f32 v13, v13, v15
	s_nop 0
	v_cndmask_b32_e32 v13, 0, v13, vcc
	v_cmp_nlt_f32_e32 vcc, s17, v12
	s_nop 1
	v_cndmask_b32_e32 v12, v8, v13, vcc
	v_add_f32_e32 v12, 1.0, v12
	v_div_scale_f32 v13, s[8:9], v12, v12, v9
	v_rcp_f32_e32 v14, v13
	v_div_scale_f32 v15, vcc, v9, v12, v9
	v_fma_f32 v16, -v13, v14, 1.0
	v_fmac_f32_e32 v14, v16, v14
	v_mul_f32_e32 v16, v15, v14
	v_fma_f32 v17, -v13, v16, v15
	v_fmac_f32_e32 v16, v17, v14
	v_fma_f32 v13, -v13, v16, v15
	v_div_fmas_f32 v13, v13, v14, v16
	v_div_fixup_f32 v9, v13, v12, v9
	v_cvt_f16_f32_e32 v9, v9
	s_waitcnt vmcnt(0)
	v_mul_f16_e32 v9, v11, v9
	v_cvt_f32_f16_e32 v9, v9
	v_mov_b32_e32 v11, 0x7f
	v_mul_f32_e32 v9, v10, v9
	v_min_f32_e32 v9, 0x43e00000, v9
	v_max_f32_e32 v9, 0xc3e00000, v9
	v_and_b32_e32 v12, 0x7fffffff, v9
	v_cmp_gt_u32_e32 vcc, s18, v12
	s_and_saveexec_b64 s[8:9], vcc
	s_cbranch_execz .LBB2_68
; %bb.70:                               ;   in Loop: Header=BB2_69 Depth=1
	v_cmp_lt_u32_e32 vcc, s19, v12
                                        ; implicit-def: $vgpr11
	s_and_saveexec_b64 s[10:11], vcc
	s_xor_b64 s[10:11], exec, s[10:11]
; %bb.71:                               ;   in Loop: Header=BB2_69 Depth=1
	v_bfe_u32 v11, v9, 20, 1
	v_add3_u32 v11, v9, v11, s20
	v_lshrrev_b32_e32 v11, 20, v11
; %bb.72:                               ;   in Loop: Header=BB2_69 Depth=1
	s_andn2_saveexec_b64 s[10:11], s[10:11]
	s_cbranch_execz .LBB2_67
; %bb.73:                               ;   in Loop: Header=BB2_69 Depth=1
	v_add_f32_e64 v11, |v9|, s21
	s_branch .LBB2_67
.LBB2_74:
	s_endpgm
	.section	.rodata,"a",@progbits
	.p2align	6, 0x0
	.amdhsa_kernel _ZN4vllm24act_and_mul_quant_kernelIN3c104HalfETnPFT_RKS3_EXadL_ZNS_11silu_kernelIS2_EES3_S5_EENS1_13Float8_e4m3fnEEEvPT1_PS4_PKfi
		.amdhsa_group_segment_fixed_size 0
		.amdhsa_private_segment_fixed_size 0
		.amdhsa_kernarg_size 288
		.amdhsa_user_sgpr_count 2
		.amdhsa_user_sgpr_dispatch_ptr 0
		.amdhsa_user_sgpr_queue_ptr 0
		.amdhsa_user_sgpr_kernarg_segment_ptr 1
		.amdhsa_user_sgpr_dispatch_id 0
		.amdhsa_user_sgpr_kernarg_preload_length 0
		.amdhsa_user_sgpr_kernarg_preload_offset 0
		.amdhsa_user_sgpr_private_segment_size 0
		.amdhsa_uses_dynamic_stack 0
		.amdhsa_enable_private_segment 0
		.amdhsa_system_sgpr_workgroup_id_x 1
		.amdhsa_system_sgpr_workgroup_id_y 1
		.amdhsa_system_sgpr_workgroup_id_z 0
		.amdhsa_system_sgpr_workgroup_info 0
		.amdhsa_system_vgpr_workitem_id 0
		.amdhsa_next_free_vgpr 48
		.amdhsa_next_free_sgpr 42
		.amdhsa_accum_offset 48
		.amdhsa_reserve_vcc 1
		.amdhsa_float_round_mode_32 0
		.amdhsa_float_round_mode_16_64 0
		.amdhsa_float_denorm_mode_32 3
		.amdhsa_float_denorm_mode_16_64 3
		.amdhsa_dx10_clamp 1
		.amdhsa_ieee_mode 1
		.amdhsa_fp16_overflow 0
		.amdhsa_tg_split 0
		.amdhsa_exception_fp_ieee_invalid_op 0
		.amdhsa_exception_fp_denorm_src 0
		.amdhsa_exception_fp_ieee_div_zero 0
		.amdhsa_exception_fp_ieee_overflow 0
		.amdhsa_exception_fp_ieee_underflow 0
		.amdhsa_exception_fp_ieee_inexact 0
		.amdhsa_exception_int_div_zero 0
	.end_amdhsa_kernel
	.section	.text._ZN4vllm24act_and_mul_quant_kernelIN3c104HalfETnPFT_RKS3_EXadL_ZNS_11silu_kernelIS2_EES3_S5_EENS1_13Float8_e4m3fnEEEvPT1_PS4_PKfi,"axG",@progbits,_ZN4vllm24act_and_mul_quant_kernelIN3c104HalfETnPFT_RKS3_EXadL_ZNS_11silu_kernelIS2_EES3_S5_EENS1_13Float8_e4m3fnEEEvPT1_PS4_PKfi,comdat
.Lfunc_end2:
	.size	_ZN4vllm24act_and_mul_quant_kernelIN3c104HalfETnPFT_RKS3_EXadL_ZNS_11silu_kernelIS2_EES3_S5_EENS1_13Float8_e4m3fnEEEvPT1_PS4_PKfi, .Lfunc_end2-_ZN4vllm24act_and_mul_quant_kernelIN3c104HalfETnPFT_RKS3_EXadL_ZNS_11silu_kernelIS2_EES3_S5_EENS1_13Float8_e4m3fnEEEvPT1_PS4_PKfi
                                        ; -- End function
	.section	.AMDGPU.csdata,"",@progbits
; Kernel info:
; codeLenInByte = 6184
; NumSgprs: 48
; NumVgprs: 48
; NumAgprs: 0
; TotalNumVgprs: 48
; ScratchSize: 0
; MemoryBound: 0
; FloatMode: 240
; IeeeMode: 1
; LDSByteSize: 0 bytes/workgroup (compile time only)
; SGPRBlocks: 5
; VGPRBlocks: 5
; NumSGPRsForWavesPerEU: 48
; NumVGPRsForWavesPerEU: 48
; AccumOffset: 48
; Occupancy: 8
; WaveLimiterHint : 0
; COMPUTE_PGM_RSRC2:SCRATCH_EN: 0
; COMPUTE_PGM_RSRC2:USER_SGPR: 2
; COMPUTE_PGM_RSRC2:TRAP_HANDLER: 0
; COMPUTE_PGM_RSRC2:TGID_X_EN: 1
; COMPUTE_PGM_RSRC2:TGID_Y_EN: 1
; COMPUTE_PGM_RSRC2:TGID_Z_EN: 0
; COMPUTE_PGM_RSRC2:TIDIG_COMP_CNT: 0
; COMPUTE_PGM_RSRC3_GFX90A:ACCUM_OFFSET: 11
; COMPUTE_PGM_RSRC3_GFX90A:TG_SPLIT: 0
	.section	.text._ZN4vllm24act_and_mul_quant_kernelIN3c104HalfETnPFT_RKS3_EXadL_ZNS_11silu_kernelIS2_EES3_S5_EENS1_15Float8_e4m3fnuzEEEvPT1_PS4_PKfi,"axG",@progbits,_ZN4vllm24act_and_mul_quant_kernelIN3c104HalfETnPFT_RKS3_EXadL_ZNS_11silu_kernelIS2_EES3_S5_EENS1_15Float8_e4m3fnuzEEEvPT1_PS4_PKfi,comdat
	.protected	_ZN4vllm24act_and_mul_quant_kernelIN3c104HalfETnPFT_RKS3_EXadL_ZNS_11silu_kernelIS2_EES3_S5_EENS1_15Float8_e4m3fnuzEEEvPT1_PS4_PKfi ; -- Begin function _ZN4vllm24act_and_mul_quant_kernelIN3c104HalfETnPFT_RKS3_EXadL_ZNS_11silu_kernelIS2_EES3_S5_EENS1_15Float8_e4m3fnuzEEEvPT1_PS4_PKfi
	.globl	_ZN4vllm24act_and_mul_quant_kernelIN3c104HalfETnPFT_RKS3_EXadL_ZNS_11silu_kernelIS2_EES3_S5_EENS1_15Float8_e4m3fnuzEEEvPT1_PS4_PKfi
	.p2align	8
	.type	_ZN4vllm24act_and_mul_quant_kernelIN3c104HalfETnPFT_RKS3_EXadL_ZNS_11silu_kernelIS2_EES3_S5_EENS1_15Float8_e4m3fnuzEEEvPT1_PS4_PKfi,@function
_ZN4vllm24act_and_mul_quant_kernelIN3c104HalfETnPFT_RKS3_EXadL_ZNS_11silu_kernelIS2_EES3_S5_EENS1_15Float8_e4m3fnuzEEEvPT1_PS4_PKfi: ; @_ZN4vllm24act_and_mul_quant_kernelIN3c104HalfETnPFT_RKS3_EXadL_ZNS_11silu_kernelIS2_EES3_S5_EENS1_15Float8_e4m3fnuzEEEvPT1_PS4_PKfi
; %bb.0:
	s_mov_b32 s4, s3
	s_load_dword s3, s[0:1], 0x24
	s_load_dword s33, s[0:1], 0x18
	s_add_u32 s22, s0, 32
	s_addc_u32 s23, s1, 0
	s_load_dwordx2 s[24:25], s[0:1], 0x0
	s_waitcnt lgkmcnt(0)
	s_abs_i32 s5, s3
	v_cvt_f32_u32_e32 v1, s5
	s_sub_i32 s7, 0, s5
	s_add_i32 s6, s33, s3
	s_add_i32 s6, s6, -1
	v_rcp_iflag_f32_e32 v1, v1
	s_xor_b32 s3, s6, s3
	s_abs_i32 s6, s6
	s_ashr_i32 s3, s3, 31
	v_mul_f32_e32 v1, 0x4f7ffffe, v1
	v_cvt_u32_f32_e32 v1, v1
	s_nop 0
	v_readfirstlane_b32 s8, v1
	s_mul_i32 s7, s7, s8
	s_mul_hi_u32 s7, s8, s7
	s_add_i32 s8, s8, s7
	s_mul_hi_u32 s7, s6, s8
	s_mul_i32 s8, s7, s5
	s_sub_i32 s6, s6, s8
	s_add_i32 s8, s7, 1
	s_sub_i32 s9, s6, s5
	s_cmp_ge_u32 s6, s5
	s_cselect_b32 s7, s8, s7
	s_cselect_b32 s6, s9, s6
	s_add_i32 s8, s7, 1
	s_cmp_ge_u32 s6, s5
	s_cselect_b32 s5, s8, s7
	s_xor_b32 s5, s5, s3
	s_sub_i32 s5, s5, s3
	s_and_b32 s3, s5, 7
	s_cmp_eq_u32 s3, 0
	s_mov_b32 s3, 0
	s_cbranch_scc1 .LBB3_2
; %bb.1:
	s_ashr_i32 s6, s5, 31
	s_lshr_b32 s6, s6, 29
	s_add_i32 s5, s5, s6
	s_and_b32 s5, s5, -8
	s_add_i32 s5, s5, 8
.LBB3_2:
	s_mul_i32 s4, s5, s4
	s_add_i32 s5, s4, s5
	s_min_i32 s20, s5, s33
	s_abs_i32 s5, s20
	v_cvt_f32_u32_e32 v1, s5
	s_ashr_i32 s40, s33, 31
	s_load_dwordx4 s[16:19], s[0:1], 0x8
	s_mul_hi_u32 s0, s33, s2
	v_rcp_iflag_f32_e32 v1, v1
	s_mul_i32 s1, s40, s2
	s_add_i32 s27, s0, s1
	s_sub_i32 s0, 0, s5
	v_mul_f32_e32 v1, 0x4f7ffffe, v1
	v_cvt_u32_f32_e32 v1, v1
	s_waitcnt lgkmcnt(0)
	s_load_dword s6, s[18:19], 0x0
	s_mul_i32 s26, s33, s2
	v_readfirstlane_b32 s1, v1
	s_mul_i32 s0, s0, s1
	s_mul_hi_u32 s0, s1, s0
	s_add_i32 s1, s1, s0
	s_lshr_b32 s0, s1, 29
	s_mul_i32 s0, s0, s5
	s_sub_i32 s0, 8, s0
	s_sub_i32 s1, s0, s5
	s_cmp_ge_u32 s0, s5
	s_cselect_b32 s0, s1, s0
	s_sub_i32 s1, s0, s5
	s_cmp_ge_u32 s0, s5
	s_cselect_b32 s21, s1, s0
	s_cmp_eq_u32 s21, 0
	s_cselect_b64 s[0:1], -1, 0
	v_cndmask_b32_e64 v15, 0, 1, s[0:1]
	s_waitcnt lgkmcnt(0)
	v_div_scale_f32 v1, s[0:1], s6, s6, 1.0
	v_rcp_f32_e32 v2, v1
	s_ashr_i32 s5, s4, 31
	s_lshr_b32 s0, s5, 29
	s_add_i32 s4, s4, s0
	v_fma_f32 v3, -v1, v2, 1.0
	v_fmac_f32_e32 v2, v3, v2
	v_div_scale_f32 v3, vcc, 1.0, s6, 1.0
	v_mul_f32_e32 v4, v3, v2
	v_fma_f32 v5, -v1, v4, v3
	v_fmac_f32_e32 v4, v5, v2
	s_ashr_i32 s0, s4, 3
	v_fma_f32 v1, -v1, v4, v3
	v_div_fmas_f32 v1, v1, v2, v4
	v_add_u32_e32 v16, s0, v0
	v_div_fixup_f32 v14, v1, s6, 1.0
	v_cmp_lt_i32_e32 vcc, v16, v15
	s_and_saveexec_b64 s[18:19], vcc
	s_cbranch_execz .LBB3_5
; %bb.3:
	s_load_dword s4, s[22:23], 0xc
	s_ashr_i32 s1, s0, 31
	v_mov_b32_e32 v1, 0
	v_lshl_add_u64 v[2:3], s[0:1], 0, v[0:1]
	s_lshl_b64 s[0:1], s[2:3], 2
	s_or_b32 s0, s0, 2
	s_waitcnt lgkmcnt(0)
	s_and_b32 s41, s4, 0xffff
	s_mul_i32 s4, s0, s40
	s_mul_hi_u32 s5, s0, s33
	s_add_i32 s4, s5, s4
	s_mul_i32 s1, s1, s33
	s_lshl_b64 s[28:29], s[26:27], 2
	s_lshl_b32 s30, s41, 4
	s_add_i32 s35, s4, s1
	s_mul_i32 s34, s0, s33
	s_add_u32 s0, s24, s26
	s_mov_b32 s31, 0
	s_addc_u32 s1, s25, s27
	v_lshl_add_u64 v[10:11], v[2:3], 4, s[16:17]
	v_lshl_add_u64 v[12:13], v[2:3], 3, s[0:1]
	s_lshl_b32 s36, s41, 3
	s_mov_b32 s37, s31
	s_mov_b64 s[38:39], 0
	s_mov_b32 s42, 0x3fb8aa3b
	s_mov_b32 s43, 0x32a5705f
	;; [unrolled: 1-line block ×5, first 2 shown]
	v_mov_b32_e32 v1, 0x7f800000
	s_mov_b32 s47, 0x43700000
	v_mov_b32_e32 v17, 0xc3700000
	s_mov_b32 s48, 0x4020c0c
	v_mov_b32_e32 v18, 8
.LBB3_4:                                ; =>This Inner Loop Header: Depth=1
	v_lshl_add_u64 v[20:21], v[10:11], 0, s[28:29]
	v_lshl_add_u64 v[22:23], v[10:11], 0, s[34:35]
	global_load_dwordx4 v[6:9], v[20:21], off
	global_load_dwordx4 v[2:5], v[22:23], off
	v_add_u32_e32 v16, s41, v16
	v_lshl_add_u64 v[10:11], v[10:11], 0, s[30:31]
	s_waitcnt vmcnt(1)
	v_cvt_f32_f16_e64 v23, -v6
	v_cvt_f32_f16_sdwa v26, -v6 dst_sel:DWORD dst_unused:UNUSED_PAD src0_sel:WORD_1
	v_cvt_f32_f16_e64 v28, -v7
	v_cvt_f32_f16_sdwa v30, -v7 dst_sel:DWORD dst_unused:UNUSED_PAD src0_sel:WORD_1
	v_cvt_f32_f16_e64 v31, -v8
	v_cvt_f32_f16_e64 v33, -v9
	v_cvt_f32_f16_sdwa v32, -v8 dst_sel:DWORD dst_unused:UNUSED_PAD src0_sel:WORD_1
	v_cvt_f32_f16_sdwa v34, -v9 dst_sel:DWORD dst_unused:UNUSED_PAD src0_sel:WORD_1
	v_mul_f32_e32 v35, 0x3fb8aa3b, v23
	v_mul_f32_e32 v36, 0x3fb8aa3b, v26
	;; [unrolled: 1-line block ×6, first 2 shown]
	v_fma_mix_f32 v43, -v6, s42, -v35 op_sel_hi:[1,0,0]
	v_rndne_f32_e32 v44, v35
	v_mul_f32_e32 v40, 0x3fb8aa3b, v32
	v_fma_mix_f32 v45, -v6, s42, -v36 op_sel:[1,0,0] op_sel_hi:[1,0,0]
	v_rndne_f32_e32 v46, v36
	v_fma_mix_f32 v47, -v7, s42, -v37 op_sel_hi:[1,0,0]
	v_rndne_f32_e32 v48, v37
	v_fma_mix_f32 v49, -v7, s42, -v38 op_sel:[1,0,0] op_sel_hi:[1,0,0]
	v_rndne_f32_e32 v50, v38
	v_rndne_f32_e32 v52, v39
	v_fma_mix_f32 v55, -v9, s42, -v41 op_sel_hi:[1,0,0]
	v_rndne_f32_e32 v56, v41
	v_fma_mix_f32 v43, -v6, s43, v43 op_sel_hi:[1,0,0]
	v_sub_f32_e32 v35, v35, v44
	v_cvt_f32_f16_e32 v19, v6
	v_cvt_f32_f16_sdwa v20, v6 dst_sel:DWORD dst_unused:UNUSED_PAD src0_sel:WORD_1
	v_cvt_f32_f16_e32 v21, v7
	v_cvt_f32_f16_sdwa v22, v7 dst_sel:DWORD dst_unused:UNUSED_PAD src0_sel:WORD_1
	v_fma_mix_f32 v51, -v8, s42, -v39 op_sel_hi:[1,0,0]
	v_fma_mix_f32 v53, -v8, s42, -v40 op_sel:[1,0,0] op_sel_hi:[1,0,0]
	v_rndne_f32_e32 v54, v40
	v_fma_mix_f32 v6, -v6, s43, v45 op_sel:[1,0,0] op_sel_hi:[1,0,0]
	v_sub_f32_e32 v36, v36, v46
	v_cvt_i32_f32_e32 v45, v46
	v_fma_mix_f32 v46, -v7, s43, v47 op_sel_hi:[1,0,0]
	v_sub_f32_e32 v37, v37, v48
	v_cvt_i32_f32_e32 v47, v48
	v_fma_mix_f32 v7, -v7, s43, v49 op_sel:[1,0,0] op_sel_hi:[1,0,0]
	v_sub_f32_e32 v38, v38, v50
	v_cvt_i32_f32_e32 v48, v50
	v_sub_f32_e32 v39, v39, v52
	v_cvt_i32_f32_e32 v50, v52
	v_fma_mix_f32 v52, -v9, s43, v55 op_sel_hi:[1,0,0]
	v_sub_f32_e32 v41, v41, v56
	v_add_f32_e32 v35, v35, v43
	v_cvt_f32_f16_e32 v24, v8
	v_cvt_f32_f16_sdwa v25, v8 dst_sel:DWORD dst_unused:UNUSED_PAD src0_sel:WORD_1
	v_mul_f32_e32 v42, 0x3fb8aa3b, v34
	v_cvt_i32_f32_e32 v44, v44
	v_fma_mix_f32 v49, -v8, s43, v51 op_sel_hi:[1,0,0]
	v_fma_mix_f32 v8, -v8, s43, v53 op_sel:[1,0,0] op_sel_hi:[1,0,0]
	v_sub_f32_e32 v40, v40, v54
	v_add_f32_e32 v7, v38, v7
	v_add_f32_e32 v38, v41, v52
	v_exp_f32_e32 v35, v35
	v_fma_mix_f32 v57, -v9, s42, -v42 op_sel:[1,0,0] op_sel_hi:[1,0,0]
	v_rndne_f32_e32 v58, v42
	v_cvt_i32_f32_e32 v53, v56
	v_add_f32_e32 v6, v36, v6
	v_add_f32_e32 v36, v37, v46
	;; [unrolled: 1-line block ×3, first 2 shown]
	v_exp_f32_e32 v7, v7
	v_exp_f32_e32 v38, v38
	v_cvt_f32_f16_e32 v27, v9
	v_cvt_f32_f16_sdwa v29, v9 dst_sel:DWORD dst_unused:UNUSED_PAD src0_sel:WORD_1
	v_cvt_i32_f32_e32 v51, v54
	v_fma_mix_f32 v9, -v9, s43, v57 op_sel:[1,0,0] op_sel_hi:[1,0,0]
	v_sub_f32_e32 v42, v42, v58
	v_add_f32_e32 v37, v39, v49
	v_exp_f32_e32 v6, v6
	v_exp_f32_e32 v36, v36
	;; [unrolled: 1-line block ×3, first 2 shown]
	v_add_f32_e32 v9, v42, v9
	v_exp_f32_e32 v37, v37
	v_cvt_i32_f32_e32 v54, v58
	v_exp_f32_e32 v9, v9
	v_ldexp_f32 v35, v35, v44
	v_cmp_ngt_f32_e64 s[14:15], s44, v23
	v_ldexp_f32 v7, v7, v48
	v_cmp_ngt_f32_e64 s[4:5], s44, v30
	;; [unrolled: 2-line block ×3, first 2 shown]
	v_cndmask_b32_e64 v35, 0, v35, s[14:15]
	v_cmp_nlt_f32_e64 s[14:15], s45, v23
	v_ldexp_f32 v6, v6, v45
	v_cmp_ngt_f32_e32 vcc, s44, v26
	v_ldexp_f32 v36, v36, v47
	v_cmp_ngt_f32_e64 s[0:1], s44, v28
	v_ldexp_f32 v8, v8, v51
	v_cmp_ngt_f32_e64 s[8:9], s44, v32
	v_cndmask_b32_e64 v7, 0, v7, s[4:5]
	v_cmp_nlt_f32_e64 s[4:5], s45, v30
	v_cndmask_b32_e64 v30, 0, v38, s[10:11]
	v_cmp_nlt_f32_e64 s[10:11], s45, v33
	v_cndmask_b32_e64 v23, v1, v35, s[14:15]
	v_ldexp_f32 v37, v37, v50
	v_cmp_ngt_f32_e64 s[6:7], s44, v31
	v_cndmask_b32_e32 v6, 0, v6, vcc
	v_cmp_nlt_f32_e32 vcc, s45, v26
	v_cndmask_b32_e64 v26, 0, v36, s[0:1]
	v_cmp_nlt_f32_e64 s[0:1], s45, v28
	v_cndmask_b32_e64 v8, 0, v8, s[8:9]
	v_cmp_nlt_f32_e64 s[8:9], s45, v32
	v_cndmask_b32_e64 v30, v1, v30, s[10:11]
	v_add_f32_e32 v23, 1.0, v23
	v_ldexp_f32 v9, v9, v54
	v_cmp_ngt_f32_e64 s[12:13], s44, v34
	v_cndmask_b32_e64 v28, 0, v37, s[6:7]
	v_cmp_nlt_f32_e64 s[6:7], s45, v31
	v_cndmask_b32_e64 v26, v1, v26, s[0:1]
	v_cndmask_b32_e64 v8, v1, v8, s[8:9]
	v_add_f32_e32 v30, 1.0, v30
	v_div_scale_f32 v31, s[0:1], v23, v23, v19
	v_cndmask_b32_e64 v9, 0, v9, s[12:13]
	v_cmp_nlt_f32_e64 s[12:13], s45, v34
	v_cndmask_b32_e32 v6, v1, v6, vcc
	v_add_f32_e32 v8, 1.0, v8
	v_div_scale_f32 v43, s[0:1], v30, v30, v27
	v_rcp_f32_e32 v47, v31
	v_cndmask_b32_e64 v9, v1, v9, s[12:13]
	v_add_f32_e32 v6, 1.0, v6
	v_div_scale_f32 v41, s[0:1], v8, v8, v25
	v_rcp_f32_e32 v53, v43
	v_cndmask_b32_e64 v7, v1, v7, s[4:5]
	v_add_f32_e32 v26, 1.0, v26
	v_add_f32_e32 v9, 1.0, v9
	v_div_scale_f32 v33, s[0:1], v6, v6, v20
	v_rcp_f32_e32 v52, v41
	v_cndmask_b32_e64 v28, v1, v28, s[6:7]
	v_add_f32_e32 v7, 1.0, v7
	v_div_scale_f32 v35, s[0:1], v26, v26, v21
	v_div_scale_f32 v45, s[4:5], v9, v9, v29
	v_rcp_f32_e32 v48, v33
	v_add_f32_e32 v28, 1.0, v28
	v_div_scale_f32 v37, s[0:1], v7, v7, v22
	v_rcp_f32_e32 v49, v35
	v_rcp_f32_e32 v54, v45
	v_fma_f32 v55, -v31, v47, 1.0
	v_div_scale_f32 v32, vcc, v19, v23, v19
	v_div_scale_f32 v39, s[0:1], v28, v28, v24
	v_rcp_f32_e32 v50, v37
	v_fmac_f32_e32 v47, v55, v47
	v_fma_f32 v55, -v43, v53, 1.0
	v_rcp_f32_e32 v51, v39
	v_fma_f32 v60, -v41, v52, 1.0
	v_fmac_f32_e32 v53, v55, v53
	v_mul_f32_e32 v55, v32, v47
	v_fma_f32 v56, -v33, v48, 1.0
	v_fmac_f32_e32 v52, v60, v52
	v_fma_f32 v60, -v31, v55, v32
	v_div_scale_f32 v34, s[14:15], v20, v6, v20
	v_fma_f32 v57, -v35, v49, 1.0
	v_fmac_f32_e32 v48, v56, v48
	v_fma_f32 v56, -v45, v54, 1.0
	v_fmac_f32_e32 v55, v60, v47
	v_div_scale_f32 v36, s[12:13], v21, v26, v21
	v_fma_f32 v58, -v37, v50, 1.0
	v_fmac_f32_e32 v49, v57, v49
	v_fmac_f32_e32 v54, v56, v54
	v_mul_f32_e32 v56, v34, v48
	v_fma_f32 v31, -v31, v55, v32
	v_div_scale_f32 v38, s[10:11], v22, v7, v22
	v_fma_f32 v59, -v39, v51, 1.0
	v_fmac_f32_e32 v50, v58, v50
	v_mul_f32_e32 v57, v36, v49
	v_div_fmas_f32 v31, v31, v47, v55
	v_fma_f32 v55, -v33, v56, v34
	v_div_scale_f32 v40, s[8:9], v24, v28, v24
	v_fmac_f32_e32 v51, v59, v51
	v_mul_f32_e32 v58, v38, v50
	v_fmac_f32_e32 v56, v55, v48
	v_fma_f32 v55, -v35, v57, v36
	v_cmp_ge_i32_e32 vcc, v16, v15
	v_div_scale_f32 v42, s[6:7], v25, v8, v25
	v_mul_f32_e32 v59, v40, v51
	v_fmac_f32_e32 v57, v55, v49
	v_fma_f32 v55, -v37, v58, v38
	v_fma_f32 v33, -v33, v56, v34
	s_or_b64 s[38:39], vcc, s[38:39]
	s_mov_b64 vcc, s[14:15]
	v_div_scale_f32 v44, s[0:1], v27, v30, v27
	v_mul_f32_e32 v60, v42, v52
	v_fmac_f32_e32 v58, v55, v50
	v_fma_f32 v55, -v39, v59, v40
	v_fma_f32 v35, -v35, v57, v36
	v_div_fixup_f32 v19, v31, v23, v19
	v_div_fmas_f32 v23, v33, v48, v56
	s_mov_b64 vcc, s[12:13]
	v_div_scale_f32 v46, s[4:5], v29, v9, v29
	v_mul_f32_e32 v32, v44, v53
	v_fmac_f32_e32 v59, v55, v51
	v_fma_f32 v55, -v41, v60, v42
	v_fma_f32 v37, -v37, v58, v38
	v_cvt_f16_f32_e32 v19, v19
	v_div_fixup_f32 v6, v23, v6, v20
	v_div_fmas_f32 v20, v35, v49, v57
	s_mov_b64 vcc, s[10:11]
	v_mul_f32_e32 v47, v46, v54
	v_fmac_f32_e32 v60, v55, v52
	v_fma_f32 v55, -v43, v32, v44
	v_fma_f32 v39, -v39, v59, v40
	v_cvt_f16_f32_e32 v6, v6
	v_div_fixup_f32 v20, v20, v26, v21
	v_div_fmas_f32 v21, v37, v50, v58
	s_mov_b64 vcc, s[8:9]
	v_fmac_f32_e32 v32, v55, v53
	v_fma_f32 v55, -v45, v47, v46
	v_fma_f32 v41, -v41, v60, v42
	v_cvt_f16_f32_e32 v20, v20
	v_div_fixup_f32 v7, v21, v7, v22
	v_div_fmas_f32 v21, v39, v51, v59
	s_mov_b64 vcc, s[6:7]
	v_fmac_f32_e32 v47, v55, v54
	v_fma_f32 v43, -v43, v32, v44
	v_cvt_f16_f32_e32 v7, v7
	v_div_fixup_f32 v21, v21, v28, v24
	v_div_fmas_f32 v22, v41, v52, v60
	s_mov_b64 vcc, s[0:1]
	v_fma_f32 v45, -v45, v47, v46
	s_waitcnt vmcnt(0)
	v_mul_f16_e32 v19, v2, v19
	v_cvt_f16_f32_e32 v21, v21
	v_div_fixup_f32 v8, v22, v8, v25
	v_div_fmas_f32 v22, v43, v53, v32
	s_mov_b64 vcc, s[4:5]
	v_cvt_f32_f16_e32 v19, v19
	v_mul_f16_sdwa v2, v2, v6 dst_sel:DWORD dst_unused:UNUSED_PAD src0_sel:WORD_1 src1_sel:DWORD
	v_cvt_f16_f32_e32 v6, v8
	v_div_fixup_f32 v8, v22, v30, v27
	v_div_fmas_f32 v22, v45, v54, v47
	v_cvt_f32_f16_e32 v2, v2
	v_mul_f16_e32 v20, v3, v20
	v_cvt_f16_f32_e32 v8, v8
	v_div_fixup_f32 v9, v22, v9, v29
	v_cvt_f32_f16_e32 v20, v20
	v_mul_f16_sdwa v3, v3, v7 dst_sel:DWORD dst_unused:UNUSED_PAD src0_sel:WORD_1 src1_sel:DWORD
	v_cvt_f16_f32_e32 v7, v9
	v_cvt_f32_f16_e32 v3, v3
	v_mul_f16_e32 v9, v4, v21
	v_mul_f32_e32 v19, v14, v19
	v_cvt_f32_f16_e32 v9, v9
	v_mul_f16_sdwa v4, v4, v6 dst_sel:DWORD dst_unused:UNUSED_PAD src0_sel:WORD_1 src1_sel:DWORD
	v_min_f32_e32 v6, 0x43600000, v19
	v_mul_f32_e32 v2, v14, v2
	v_cvt_f32_f16_e32 v4, v4
	v_mul_f16_e32 v8, v5, v8
	v_max_f32_e32 v6, 0xc3600000, v6
	v_min_f32_e32 v2, 0x43600000, v2
	v_mul_f32_e32 v19, v14, v20
	v_cvt_f32_f16_e32 v8, v8
	v_mul_f16_sdwa v5, v5, v7 dst_sel:DWORD dst_unused:UNUSED_PAD src0_sel:WORD_1 src1_sel:DWORD
	v_med3_f32 v7, v6, s47, v17
	v_max_f32_e32 v2, 0xc3600000, v2
	v_min_f32_e32 v19, 0x43600000, v19
	v_mul_f32_e32 v3, v14, v3
	v_cvt_f32_f16_e32 v5, v5
	v_cmp_nlg_f32_e64 vcc, |v6|, s46
	v_mov_b32_e32 v55, 0
	v_max_f32_e32 v19, 0xc3600000, v19
	v_cndmask_b32_e32 v6, v7, v6, vcc
	v_med3_f32 v7, v2, s47, v17
	v_min_f32_e32 v3, 0x43600000, v3
	v_mul_f32_e32 v9, v14, v9
	v_cmp_nlg_f32_e64 vcc, |v2|, s46
	v_mov_b32_e32 v34, 0
	v_cvt_pk_fp8_f32 v55, v6, v6
	v_cndmask_b32_e32 v2, v7, v2, vcc
	v_med3_f32 v6, v19, s47, v17
	v_max_f32_e32 v3, 0xc3600000, v3
	v_min_f32_e32 v7, 0x43600000, v9
	v_mul_f32_e32 v4, v14, v4
	v_cmp_nlg_f32_e64 vcc, |v19|, s46
	v_mov_b32_e32 v36, 0
	v_cvt_pk_fp8_f32 v34, v2, v2
	v_cndmask_b32_e32 v2, v6, v19, vcc
	v_med3_f32 v6, v3, s47, v17
	v_max_f32_e32 v7, 0xc3600000, v7
	;; [unrolled: 8-line block ×4, first 2 shown]
	v_min_f32_e32 v5, 0x43600000, v5
	v_cmp_nlg_f32_e64 vcc, |v4|, s46
	v_mov_b32_e32 v42, 0
	v_cvt_pk_fp8_f32 v40, v2, v2
	v_cndmask_b32_e32 v2, v3, v4, vcc
	v_med3_f32 v3, v6, s47, v17
	v_max_f32_e32 v4, 0xc3600000, v5
	v_cmp_nlg_f32_e64 vcc, |v6|, s46
	v_mov_b32_e32 v44, 0
	v_cvt_pk_fp8_f32 v42, v2, v2
	v_cndmask_b32_e32 v2, v3, v6, vcc
	v_med3_f32 v3, v4, s47, v17
	v_cmp_nlg_f32_e64 vcc, |v4|, s46
	v_mov_b32_e32 v46, 0
	v_cvt_pk_fp8_f32 v44, v2, v2
	v_cndmask_b32_e32 v2, v3, v4, vcc
	v_cvt_pk_fp8_f32 v46, v2, v2
	v_lshlrev_b32_e32 v6, 8, v34
	v_lshlrev_b32_e32 v3, 16, v36
	v_and_b32_e32 v5, 0xff, v55
	v_and_b32_e32 v4, 0xff00, v6
	v_perm_b32 v2, v38, v3, s48
	v_or3_b32 v2, v2, v4, v5
	v_and_b32_e32 v5, 0xff, v44
	v_lshlrev_b32_e32 v6, 24, v46
	v_lshlrev_b32_e32 v5, 16, v5
	v_and_b32_e32 v3, 0xff, v40
	v_lshlrev_b32_sdwa v4, v18, v42 dst_sel:DWORD dst_unused:UNUSED_PAD src0_sel:DWORD src1_sel:BYTE_0
	v_or_b32_e32 v5, v6, v5
	v_or3_b32 v3, v5, v4, v3
	global_store_dwordx2 v[12:13], v[2:3], off
	v_lshl_add_u64 v[12:13], v[12:13], 0, s[36:37]
	s_andn2_b64 exec, exec, s[38:39]
	s_cbranch_execnz .LBB3_4
.LBB3_5:
	s_or_b64 exec, exec, s[18:19]
	s_sub_i32 s0, 8, s21
	s_cmp_gt_i32 s20, s0
	s_cbranch_scc0 .LBB3_9
; %bb.6:
	v_add_u32_e32 v0, s0, v0
	v_cmp_gt_i32_e32 vcc, s20, v0
	s_and_saveexec_b64 s[0:1], vcc
	s_cbranch_execz .LBB3_9
; %bb.7:
	s_ashr_i32 s21, s20, 31
	s_load_dword s4, s[22:23], 0xc
	s_add_u32 s0, s24, s26
	s_addc_u32 s1, s25, s27
	s_lshl_b64 s[2:3], s[2:3], 2
	s_or_b32 s2, s2, 2
	v_mov_b32_e32 v1, 0
	s_mul_i32 s6, s2, s40
	s_mul_hi_u32 s7, s2, s33
	s_mov_b32 s5, 0
	s_waitcnt lgkmcnt(0)
	s_and_b32 s4, s4, 0xffff
	s_add_i32 s6, s7, s6
	s_mul_i32 s3, s3, s33
	v_lshlrev_b32_e32 v2, 1, v0
	v_mov_b32_e32 v3, v1
	s_add_i32 s3, s6, s3
	s_mul_i32 s2, s2, s33
	v_lshl_add_u64 v[2:3], s[16:17], 0, v[2:3]
	s_lshl_b32 s6, s4, 1
	s_mov_b32 s7, s5
	s_lshl_b64 s[8:9], s[26:27], 2
	s_mov_b64 s[10:11], 0
	s_mov_b32 s12, 0x3fb8aa3b
	s_mov_b32 s13, 0x32a5705f
	;; [unrolled: 1-line block ×5, first 2 shown]
	v_mov_b32_e32 v4, 0x7f800000
	s_mov_b32 s17, 0x43700000
	v_mov_b32_e32 v5, 0xc3700000
.LBB3_8:                                ; =>This Inner Loop Header: Depth=1
	v_lshl_add_u64 v[6:7], v[2:3], 0, s[8:9]
	global_load_ushort v8, v[6:7], off
	v_lshl_add_u64 v[6:7], v[2:3], 0, s[2:3]
	global_load_ushort v6, v[6:7], off
	v_lshl_add_u64 v[2:3], v[2:3], 0, s[6:7]
	s_waitcnt vmcnt(1)
	v_cvt_f32_f16_e64 v7, -v8
	v_cvt_f32_f16_e32 v9, v8
	v_mul_f32_e32 v10, 0x3fb8aa3b, v7
	v_fma_mix_f32 v11, -v8, s12, -v10 op_sel_hi:[1,0,0]
	v_rndne_f32_e32 v12, v10
	v_fma_mix_f32 v8, -v8, s13, v11 op_sel_hi:[1,0,0]
	v_sub_f32_e32 v10, v10, v12
	v_add_f32_e32 v8, v10, v8
	v_cvt_i32_f32_e32 v11, v12
	v_exp_f32_e32 v8, v8
	v_cmp_ngt_f32_e32 vcc, s14, v7
	v_ldexp_f32 v8, v8, v11
	s_nop 0
	v_cndmask_b32_e32 v8, 0, v8, vcc
	v_cmp_nlt_f32_e32 vcc, s15, v7
	s_nop 1
	v_cndmask_b32_e32 v7, v4, v8, vcc
	v_add_f32_e32 v7, 1.0, v7
	v_div_scale_f32 v8, s[18:19], v7, v7, v9
	v_rcp_f32_e32 v10, v8
	v_div_scale_f32 v11, vcc, v9, v7, v9
	v_fma_f32 v12, -v8, v10, 1.0
	v_fmac_f32_e32 v10, v12, v10
	v_mul_f32_e32 v12, v11, v10
	v_fma_f32 v13, -v8, v12, v11
	v_fmac_f32_e32 v12, v13, v10
	v_fma_f32 v8, -v8, v12, v11
	v_div_fmas_f32 v8, v8, v10, v12
	v_div_fixup_f32 v7, v8, v7, v9
	v_cvt_f16_f32_e32 v7, v7
	v_mov_b32_e32 v8, 0
	s_waitcnt vmcnt(0)
	v_mul_f16_e32 v6, v6, v7
	v_cvt_f32_f16_e32 v9, v6
	v_lshl_add_u64 v[6:7], s[0:1], 0, v[0:1]
	v_lshl_add_u64 v[0:1], v[0:1], 0, s[4:5]
	v_mul_f32_e32 v9, v14, v9
	v_min_f32_e32 v9, 0x43600000, v9
	v_max_f32_e32 v9, 0xc3600000, v9
	v_med3_f32 v10, v9, s17, v5
	v_cmp_nlg_f32_e64 vcc, |v9|, s16
	s_nop 1
	v_cndmask_b32_e32 v9, v10, v9, vcc
	v_cvt_pk_fp8_f32 v8, v9, v9
	v_cmp_le_i64_e32 vcc, s[20:21], v[0:1]
	s_or_b64 s[10:11], vcc, s[10:11]
	global_store_byte v[6:7], v8, off
	s_andn2_b64 exec, exec, s[10:11]
	s_cbranch_execnz .LBB3_8
.LBB3_9:
	s_endpgm
	.section	.rodata,"a",@progbits
	.p2align	6, 0x0
	.amdhsa_kernel _ZN4vllm24act_and_mul_quant_kernelIN3c104HalfETnPFT_RKS3_EXadL_ZNS_11silu_kernelIS2_EES3_S5_EENS1_15Float8_e4m3fnuzEEEvPT1_PS4_PKfi
		.amdhsa_group_segment_fixed_size 0
		.amdhsa_private_segment_fixed_size 0
		.amdhsa_kernarg_size 288
		.amdhsa_user_sgpr_count 2
		.amdhsa_user_sgpr_dispatch_ptr 0
		.amdhsa_user_sgpr_queue_ptr 0
		.amdhsa_user_sgpr_kernarg_segment_ptr 1
		.amdhsa_user_sgpr_dispatch_id 0
		.amdhsa_user_sgpr_kernarg_preload_length 0
		.amdhsa_user_sgpr_kernarg_preload_offset 0
		.amdhsa_user_sgpr_private_segment_size 0
		.amdhsa_uses_dynamic_stack 0
		.amdhsa_enable_private_segment 0
		.amdhsa_system_sgpr_workgroup_id_x 1
		.amdhsa_system_sgpr_workgroup_id_y 1
		.amdhsa_system_sgpr_workgroup_id_z 0
		.amdhsa_system_sgpr_workgroup_info 0
		.amdhsa_system_vgpr_workitem_id 0
		.amdhsa_next_free_vgpr 61
		.amdhsa_next_free_sgpr 49
		.amdhsa_accum_offset 64
		.amdhsa_reserve_vcc 1
		.amdhsa_float_round_mode_32 0
		.amdhsa_float_round_mode_16_64 0
		.amdhsa_float_denorm_mode_32 3
		.amdhsa_float_denorm_mode_16_64 3
		.amdhsa_dx10_clamp 1
		.amdhsa_ieee_mode 1
		.amdhsa_fp16_overflow 0
		.amdhsa_tg_split 0
		.amdhsa_exception_fp_ieee_invalid_op 0
		.amdhsa_exception_fp_denorm_src 0
		.amdhsa_exception_fp_ieee_div_zero 0
		.amdhsa_exception_fp_ieee_overflow 0
		.amdhsa_exception_fp_ieee_underflow 0
		.amdhsa_exception_fp_ieee_inexact 0
		.amdhsa_exception_int_div_zero 0
	.end_amdhsa_kernel
	.section	.text._ZN4vllm24act_and_mul_quant_kernelIN3c104HalfETnPFT_RKS3_EXadL_ZNS_11silu_kernelIS2_EES3_S5_EENS1_15Float8_e4m3fnuzEEEvPT1_PS4_PKfi,"axG",@progbits,_ZN4vllm24act_and_mul_quant_kernelIN3c104HalfETnPFT_RKS3_EXadL_ZNS_11silu_kernelIS2_EES3_S5_EENS1_15Float8_e4m3fnuzEEEvPT1_PS4_PKfi,comdat
.Lfunc_end3:
	.size	_ZN4vllm24act_and_mul_quant_kernelIN3c104HalfETnPFT_RKS3_EXadL_ZNS_11silu_kernelIS2_EES3_S5_EENS1_15Float8_e4m3fnuzEEEvPT1_PS4_PKfi, .Lfunc_end3-_ZN4vllm24act_and_mul_quant_kernelIN3c104HalfETnPFT_RKS3_EXadL_ZNS_11silu_kernelIS2_EES3_S5_EENS1_15Float8_e4m3fnuzEEEvPT1_PS4_PKfi
                                        ; -- End function
	.section	.AMDGPU.csdata,"",@progbits
; Kernel info:
; codeLenInByte = 3268
; NumSgprs: 55
; NumVgprs: 61
; NumAgprs: 0
; TotalNumVgprs: 61
; ScratchSize: 0
; MemoryBound: 0
; FloatMode: 240
; IeeeMode: 1
; LDSByteSize: 0 bytes/workgroup (compile time only)
; SGPRBlocks: 6
; VGPRBlocks: 7
; NumSGPRsForWavesPerEU: 55
; NumVGPRsForWavesPerEU: 61
; AccumOffset: 64
; Occupancy: 8
; WaveLimiterHint : 0
; COMPUTE_PGM_RSRC2:SCRATCH_EN: 0
; COMPUTE_PGM_RSRC2:USER_SGPR: 2
; COMPUTE_PGM_RSRC2:TRAP_HANDLER: 0
; COMPUTE_PGM_RSRC2:TGID_X_EN: 1
; COMPUTE_PGM_RSRC2:TGID_Y_EN: 1
; COMPUTE_PGM_RSRC2:TGID_Z_EN: 0
; COMPUTE_PGM_RSRC2:TIDIG_COMP_CNT: 0
; COMPUTE_PGM_RSRC3_GFX90A:ACCUM_OFFSET: 15
; COMPUTE_PGM_RSRC3_GFX90A:TG_SPLIT: 0
	.section	.text._ZN4vllm24act_and_mul_quant_kernelIN3c108BFloat16ETnPFT_RKS3_EXadL_ZNS_11silu_kernelIS2_EES3_S5_EENS1_13Float8_e4m3fnEEEvPT1_PS4_PKfi,"axG",@progbits,_ZN4vllm24act_and_mul_quant_kernelIN3c108BFloat16ETnPFT_RKS3_EXadL_ZNS_11silu_kernelIS2_EES3_S5_EENS1_13Float8_e4m3fnEEEvPT1_PS4_PKfi,comdat
	.protected	_ZN4vllm24act_and_mul_quant_kernelIN3c108BFloat16ETnPFT_RKS3_EXadL_ZNS_11silu_kernelIS2_EES3_S5_EENS1_13Float8_e4m3fnEEEvPT1_PS4_PKfi ; -- Begin function _ZN4vllm24act_and_mul_quant_kernelIN3c108BFloat16ETnPFT_RKS3_EXadL_ZNS_11silu_kernelIS2_EES3_S5_EENS1_13Float8_e4m3fnEEEvPT1_PS4_PKfi
	.globl	_ZN4vllm24act_and_mul_quant_kernelIN3c108BFloat16ETnPFT_RKS3_EXadL_ZNS_11silu_kernelIS2_EES3_S5_EENS1_13Float8_e4m3fnEEEvPT1_PS4_PKfi
	.p2align	8
	.type	_ZN4vllm24act_and_mul_quant_kernelIN3c108BFloat16ETnPFT_RKS3_EXadL_ZNS_11silu_kernelIS2_EES3_S5_EENS1_13Float8_e4m3fnEEEvPT1_PS4_PKfi,@function
_ZN4vllm24act_and_mul_quant_kernelIN3c108BFloat16ETnPFT_RKS3_EXadL_ZNS_11silu_kernelIS2_EES3_S5_EENS1_13Float8_e4m3fnEEEvPT1_PS4_PKfi: ; @_ZN4vllm24act_and_mul_quant_kernelIN3c108BFloat16ETnPFT_RKS3_EXadL_ZNS_11silu_kernelIS2_EES3_S5_EENS1_13Float8_e4m3fnEEEvPT1_PS4_PKfi
; %bb.0:
	s_mov_b32 s4, s3
	s_load_dword s3, s[0:1], 0x24
	s_load_dword s28, s[0:1], 0x18
	s_add_u32 s14, s0, 32
	s_addc_u32 s15, s1, 0
	s_load_dwordx4 s[8:11], s[0:1], 0x0
	s_waitcnt lgkmcnt(0)
	s_abs_i32 s5, s3
	v_cvt_f32_u32_e32 v1, s5
	s_sub_i32 s7, 0, s5
	s_add_i32 s6, s28, s3
	s_add_i32 s6, s6, -1
	v_rcp_iflag_f32_e32 v1, v1
	s_xor_b32 s3, s6, s3
	s_abs_i32 s6, s6
	s_ashr_i32 s3, s3, 31
	v_mul_f32_e32 v1, 0x4f7ffffe, v1
	v_cvt_u32_f32_e32 v1, v1
	s_nop 0
	v_readfirstlane_b32 s12, v1
	s_mul_i32 s7, s7, s12
	s_mul_hi_u32 s7, s12, s7
	s_add_i32 s12, s12, s7
	s_mul_hi_u32 s7, s6, s12
	s_mul_i32 s12, s7, s5
	s_sub_i32 s6, s6, s12
	s_add_i32 s12, s7, 1
	s_sub_i32 s13, s6, s5
	s_cmp_ge_u32 s6, s5
	s_cselect_b32 s7, s12, s7
	s_cselect_b32 s6, s13, s6
	s_add_i32 s12, s7, 1
	s_cmp_ge_u32 s6, s5
	s_cselect_b32 s5, s12, s7
	s_xor_b32 s5, s5, s3
	s_sub_i32 s5, s5, s3
	s_and_b32 s3, s5, 7
	s_cmp_eq_u32 s3, 0
	s_mov_b32 s3, 0
	s_cbranch_scc1 .LBB4_2
; %bb.1:
	s_ashr_i32 s6, s5, 31
	s_lshr_b32 s6, s6, 29
	s_add_i32 s5, s5, s6
	s_and_b32 s5, s5, -8
	s_add_i32 s5, s5, 8
.LBB4_2:
	s_mul_i32 s4, s5, s4
	s_add_i32 s5, s4, s5
	s_min_i32 s6, s5, s28
	s_abs_i32 s5, s6
	v_cvt_f32_u32_e32 v1, s5
	s_load_dwordx2 s[0:1], s[0:1], 0x10
	s_ashr_i32 s29, s28, 31
	s_mul_hi_u32 s7, s28, s2
	v_rcp_iflag_f32_e32 v1, v1
	s_mul_i32 s13, s29, s2
	s_add_i32 s13, s7, s13
	s_sub_i32 s7, 0, s5
	v_mul_f32_e32 v1, 0x4f7ffffe, v1
	v_cvt_u32_f32_e32 v1, v1
	s_waitcnt lgkmcnt(0)
	s_load_dword s16, s[0:1], 0x0
	s_mul_i32 s12, s28, s2
	v_readfirstlane_b32 s0, v1
	s_mul_i32 s7, s7, s0
	s_mul_hi_u32 s1, s0, s7
	s_add_i32 s0, s0, s1
	s_lshr_b32 s0, s0, 29
	s_mul_i32 s0, s0, s5
	s_sub_i32 s0, 8, s0
	s_sub_i32 s1, s0, s5
	s_cmp_ge_u32 s0, s5
	s_cselect_b32 s0, s1, s0
	s_sub_i32 s1, s0, s5
	s_cmp_ge_u32 s0, s5
	s_cselect_b32 s7, s1, s0
	s_cmp_eq_u32 s7, 0
	s_cselect_b64 s[0:1], -1, 0
	v_cndmask_b32_e64 v11, 0, 1, s[0:1]
	s_waitcnt lgkmcnt(0)
	v_div_scale_f32 v1, s[0:1], s16, s16, 1.0
	v_rcp_f32_e32 v2, v1
	s_ashr_i32 s5, s4, 31
	s_lshr_b32 s0, s5, 29
	s_add_i32 s4, s4, s0
	v_fma_f32 v3, -v1, v2, 1.0
	v_fmac_f32_e32 v2, v3, v2
	v_div_scale_f32 v3, vcc, 1.0, s16, 1.0
	v_mul_f32_e32 v4, v3, v2
	v_fma_f32 v5, -v1, v4, v3
	v_fmac_f32_e32 v4, v5, v2
	s_ashr_i32 s18, s4, 3
	v_fma_f32 v1, -v1, v4, v3
	v_div_fmas_f32 v1, v1, v2, v4
	v_add_u32_e32 v16, s18, v0
	v_div_fixup_f32 v10, v1, s16, 1.0
	v_cmp_lt_i32_e32 vcc, v16, v11
	s_and_saveexec_b64 s[0:1], vcc
	s_cbranch_execz .LBB4_53
; %bb.3:
	s_load_dword s16, s[14:15], 0xc
	s_ashr_i32 s19, s18, 31
	v_mov_b32_e32 v1, 0
	v_lshl_add_u64 v[2:3], s[18:19], 0, v[0:1]
	s_lshl_b64 s[18:19], s[2:3], 2
	s_or_b32 s18, s18, 2
	s_mul_i32 s20, s18, s29
	s_mul_hi_u32 s21, s18, s28
	s_waitcnt lgkmcnt(0)
	s_and_b32 s30, s16, 0xffff
	s_add_i32 s20, s21, s20
	s_mul_i32 s19, s19, s28
	s_lshl_b64 s[4:5], s[12:13], 2
	s_lshl_b32 s16, s30, 4
	s_add_i32 s19, s20, s19
	s_add_u32 s20, s8, s12
	s_mov_b32 s17, 0
	s_addc_u32 s21, s9, s13
	v_lshl_add_u64 v[12:13], v[2:3], 4, s[10:11]
	s_mul_i32 s18, s18, s28
	v_lshl_add_u64 v[14:15], v[2:3], 3, s[20:21]
	s_lshl_b32 s20, s30, 3
	s_mov_b32 s21, s17
	s_mov_b64 s[22:23], 0
	s_movk_i32 s31, 0x7fff
	v_mov_b32_e32 v1, 0x7fc00000
	s_mov_b32 s33, 0x3fb8aa3b
	s_mov_b32 s34, 0xc2ce8ed0
	s_mov_b32 s35, 0x42b17218
	v_mov_b32_e32 v17, 0x7f800000
	s_mov_b32 s36, 0x43f00000
	s_mov_b32 s37, 0x3c7fffff
	;; [unrolled: 1-line block ×4, first 2 shown]
	s_movk_i32 s40, 0x80
	s_movk_i32 s41, 0xff
	s_branch .LBB4_6
.LBB4_4:                                ;   in Loop: Header=BB4_6 Depth=1
	s_or_b64 exec, exec, s[26:27]
.LBB4_5:                                ;   in Loop: Header=BB4_6 Depth=1
	s_or_b64 exec, exec, s[24:25]
	v_and_b32_sdwa v8, v8, s40 dst_sel:DWORD dst_unused:UNUSED_PAD src0_sel:BYTE_3 src1_sel:DWORD
	v_lshrrev_b32_e32 v5, 24, v5
	v_and_b32_sdwa v4, v4, s40 dst_sel:DWORD dst_unused:UNUSED_PAD src0_sel:BYTE_3 src1_sel:DWORD
	v_and_or_b32 v5, v5, s40, v26
	v_and_or_b32 v8, v25, s41, v8
	v_and_b32_sdwa v9, v24, s40 dst_sel:DWORD dst_unused:UNUSED_PAD src0_sel:BYTE_3 src1_sel:DWORD
	v_and_b32_sdwa v22, v22, s40 dst_sel:DWORD dst_unused:UNUSED_PAD src0_sel:BYTE_3 src1_sel:DWORD
	v_lshlrev_b32_e32 v5, 24, v5
	v_lshlrev_b32_e32 v8, 16, v8
	v_and_or_b32 v4, v23, s41, v4
	v_and_b32_sdwa v2, v2, s40 dst_sel:DWORD dst_unused:UNUSED_PAD src0_sel:BYTE_3 src1_sel:DWORD
	v_or_b32_e32 v5, v5, v8
	v_lshlrev_b32_e32 v4, 8, v4
	v_and_or_b32 v7, v7, s41, v9
	v_and_or_b32 v6, v6, s41, v22
	v_and_b32_sdwa v20, v20, s40 dst_sel:DWORD dst_unused:UNUSED_PAD src0_sel:BYTE_3 src1_sel:DWORD
	v_or3_b32 v5, v5, v4, v7
	v_lshlrev_b32_e32 v4, 24, v21
	v_and_b32_e32 v3, 0x80000000, v3
	v_lshlrev_b32_e32 v6, 16, v6
	v_and_or_b32 v2, v18, s41, v2
	v_lshlrev_b32_e32 v2, 8, v2
	v_or3_b32 v3, v3, v4, v6
	v_and_or_b32 v4, v19, s41, v20
	v_add_u32_e32 v16, s30, v16
	v_or3_b32 v4, v3, v2, v4
	v_cmp_ge_i32_e32 vcc, v16, v11
	global_store_dwordx2 v[14:15], v[4:5], off
	v_lshl_add_u64 v[12:13], v[12:13], 0, s[16:17]
	s_or_b64 s[22:23], vcc, s[22:23]
	v_lshl_add_u64 v[14:15], v[14:15], 0, s[20:21]
	s_andn2_b64 exec, exec, s[22:23]
	s_cbranch_execz .LBB4_53
.LBB4_6:                                ; =>This Inner Loop Header: Depth=1
	v_lshl_add_u64 v[2:3], v[12:13], 0, s[4:5]
	global_load_dwordx4 v[6:9], v[2:3], off
	v_lshl_add_u64 v[2:3], v[12:13], 0, s[18:19]
	global_load_dwordx4 v[2:5], v[2:3], off
	s_waitcnt vmcnt(1)
	v_lshlrev_b32_e32 v19, 16, v6
	v_xor_b32_e32 v18, 0x80000000, v19
	v_bfe_u32 v20, v18, 16, 1
	v_add3_u32 v18, v18, v20, s31
	v_and_b32_e32 v18, 0xffff0000, v18
	v_cmp_o_f32_e32 vcc, v19, v19
	s_waitcnt vmcnt(0)
	v_lshlrev_b32_e32 v23, 16, v2
	v_cndmask_b32_e32 v20, v1, v18, vcc
	v_mul_f32_e32 v18, 0x3fb8aa3b, v20
	v_fma_f32 v21, v20, s33, -v18
	v_rndne_f32_e32 v22, v18
	v_fmac_f32_e32 v21, 0x32a5705f, v20
	v_sub_f32_e32 v18, v18, v22
	v_add_f32_e32 v18, v18, v21
	v_cvt_i32_f32_e32 v22, v22
	v_exp_f32_e32 v21, v18
	v_cmp_ngt_f32_e32 vcc, s34, v20
	v_mov_b32_e32 v18, 0x7f
	v_ldexp_f32 v21, v21, v22
	v_cndmask_b32_e32 v21, 0, v21, vcc
	v_cmp_nlt_f32_e32 vcc, s35, v20
	s_nop 1
	v_cndmask_b32_e32 v20, v17, v21, vcc
	v_add_f32_e32 v20, 1.0, v20
	v_div_scale_f32 v21, s[24:25], v20, v20, v19
	v_rcp_f32_e32 v22, v21
	v_div_scale_f32 v24, vcc, v19, v20, v19
	v_fma_f32 v25, -v21, v22, 1.0
	v_fmac_f32_e32 v22, v25, v22
	v_mul_f32_e32 v25, v24, v22
	v_fma_f32 v26, -v21, v25, v24
	v_fmac_f32_e32 v25, v26, v22
	v_fma_f32 v21, -v21, v25, v24
	v_div_fmas_f32 v21, v21, v22, v25
	v_div_fixup_f32 v19, v21, v20, v19
	v_bfe_u32 v20, v19, 16, 1
	v_add3_u32 v20, v19, v20, s31
	v_and_b32_e32 v20, 0xffff0000, v20
	v_cmp_o_f32_e32 vcc, v19, v19
	s_nop 1
	v_cndmask_b32_e32 v19, v1, v20, vcc
	v_mul_f32_e32 v19, v19, v23
	v_bfe_u32 v20, v19, 16, 1
	v_add3_u32 v20, v19, v20, s31
	v_and_b32_e32 v20, 0xffff0000, v20
	v_cmp_o_f32_e32 vcc, v19, v19
	s_nop 1
	v_cndmask_b32_e32 v19, v1, v20, vcc
	v_mul_f32_e32 v19, v10, v19
	v_min_f32_e32 v19, 0x43e00000, v19
	v_max_f32_e32 v20, 0xc3e00000, v19
	v_and_b32_e32 v21, 0x7fffffff, v20
	v_cmp_gt_u32_e32 vcc, s36, v21
	v_mov_b32_e32 v19, 0x7f
	s_and_saveexec_b64 s[24:25], vcc
	s_cbranch_execz .LBB4_12
; %bb.7:                                ;   in Loop: Header=BB4_6 Depth=1
	v_cmp_lt_u32_e32 vcc, s37, v21
                                        ; implicit-def: $vgpr19
	s_and_saveexec_b64 s[26:27], vcc
	s_xor_b64 s[26:27], exec, s[26:27]
; %bb.8:                                ;   in Loop: Header=BB4_6 Depth=1
	v_bfe_u32 v19, v20, 20, 1
	v_add3_u32 v19, v20, v19, s38
	v_lshrrev_b32_e32 v19, 20, v19
; %bb.9:                                ;   in Loop: Header=BB4_6 Depth=1
	s_andn2_saveexec_b64 s[26:27], s[26:27]
; %bb.10:                               ;   in Loop: Header=BB4_6 Depth=1
	v_add_f32_e64 v19, |v20|, s39
; %bb.11:                               ;   in Loop: Header=BB4_6 Depth=1
	s_or_b64 exec, exec, s[26:27]
.LBB4_12:                               ;   in Loop: Header=BB4_6 Depth=1
	s_or_b64 exec, exec, s[24:25]
	v_and_b32_e32 v6, 0xffff0000, v6
	v_xor_b32_e32 v21, 0x80000000, v6
	v_bfe_u32 v22, v21, 16, 1
	v_add3_u32 v21, v21, v22, s31
	v_and_b32_e32 v21, 0xffff0000, v21
	v_cmp_o_f32_e32 vcc, v6, v6
	v_and_b32_e32 v2, 0xffff0000, v2
	s_nop 0
	v_cndmask_b32_e32 v21, v1, v21, vcc
	v_mul_f32_e32 v22, 0x3fb8aa3b, v21
	v_fma_f32 v23, v21, s33, -v22
	v_rndne_f32_e32 v24, v22
	v_fmac_f32_e32 v23, 0x32a5705f, v21
	v_sub_f32_e32 v22, v22, v24
	v_add_f32_e32 v22, v22, v23
	v_exp_f32_e32 v22, v22
	v_cvt_i32_f32_e32 v23, v24
	v_cmp_ngt_f32_e32 vcc, s34, v21
	v_ldexp_f32 v22, v22, v23
	s_nop 0
	v_cndmask_b32_e32 v22, 0, v22, vcc
	v_cmp_nlt_f32_e32 vcc, s35, v21
	s_nop 1
	v_cndmask_b32_e32 v21, v17, v22, vcc
	v_add_f32_e32 v21, 1.0, v21
	v_div_scale_f32 v22, s[24:25], v21, v21, v6
	v_rcp_f32_e32 v23, v22
	s_nop 0
	v_fma_f32 v24, -v22, v23, 1.0
	v_fmac_f32_e32 v23, v24, v23
	v_div_scale_f32 v24, vcc, v6, v21, v6
	v_mul_f32_e32 v25, v24, v23
	v_fma_f32 v26, -v22, v25, v24
	v_fmac_f32_e32 v25, v26, v23
	v_fma_f32 v22, -v22, v25, v24
	v_div_fmas_f32 v22, v22, v23, v25
	v_div_fixup_f32 v6, v22, v21, v6
	v_bfe_u32 v21, v6, 16, 1
	v_add3_u32 v21, v6, v21, s31
	v_and_b32_e32 v21, 0xffff0000, v21
	v_cmp_o_f32_e32 vcc, v6, v6
	s_nop 1
	v_cndmask_b32_e32 v6, v1, v21, vcc
	v_mul_f32_e32 v2, v6, v2
	v_bfe_u32 v6, v2, 16, 1
	v_add3_u32 v6, v2, v6, s31
	v_and_b32_e32 v6, 0xffff0000, v6
	v_cmp_o_f32_e32 vcc, v2, v2
	s_nop 1
	v_cndmask_b32_e32 v2, v1, v6, vcc
	v_mul_f32_e32 v2, v10, v2
	v_min_f32_e32 v2, 0x43e00000, v2
	v_max_f32_e32 v2, 0xc3e00000, v2
	v_and_b32_e32 v6, 0x7fffffff, v2
	v_cmp_gt_u32_e32 vcc, s36, v6
	s_and_saveexec_b64 s[24:25], vcc
	s_cbranch_execz .LBB4_18
; %bb.13:                               ;   in Loop: Header=BB4_6 Depth=1
	v_cmp_lt_u32_e32 vcc, s37, v6
                                        ; implicit-def: $vgpr18
	s_and_saveexec_b64 s[26:27], vcc
	s_xor_b64 s[26:27], exec, s[26:27]
; %bb.14:                               ;   in Loop: Header=BB4_6 Depth=1
	v_bfe_u32 v6, v2, 20, 1
	v_add3_u32 v6, v2, v6, s38
	v_lshrrev_b32_e32 v18, 20, v6
; %bb.15:                               ;   in Loop: Header=BB4_6 Depth=1
	s_andn2_saveexec_b64 s[26:27], s[26:27]
; %bb.16:                               ;   in Loop: Header=BB4_6 Depth=1
	v_add_f32_e64 v18, |v2|, s39
; %bb.17:                               ;   in Loop: Header=BB4_6 Depth=1
	s_or_b64 exec, exec, s[26:27]
.LBB4_18:                               ;   in Loop: Header=BB4_6 Depth=1
	s_or_b64 exec, exec, s[24:25]
	v_lshlrev_b32_e32 v6, 16, v7
	v_xor_b32_e32 v21, 0x80000000, v6
	v_bfe_u32 v22, v21, 16, 1
	v_add3_u32 v21, v21, v22, s31
	v_and_b32_e32 v21, 0xffff0000, v21
	v_cmp_o_f32_e32 vcc, v6, v6
	s_nop 1
	v_cndmask_b32_e32 v21, v1, v21, vcc
	v_mul_f32_e32 v22, 0x3fb8aa3b, v21
	v_fma_f32 v23, v21, s33, -v22
	v_rndne_f32_e32 v24, v22
	v_fmac_f32_e32 v23, 0x32a5705f, v21
	v_sub_f32_e32 v22, v22, v24
	v_add_f32_e32 v22, v22, v23
	v_exp_f32_e32 v22, v22
	v_cvt_i32_f32_e32 v23, v24
	v_cmp_ngt_f32_e32 vcc, s34, v21
	v_ldexp_f32 v22, v22, v23
	s_nop 0
	v_cndmask_b32_e32 v22, 0, v22, vcc
	v_cmp_nlt_f32_e32 vcc, s35, v21
	s_nop 1
	v_cndmask_b32_e32 v21, v17, v22, vcc
	v_add_f32_e32 v21, 1.0, v21
	v_div_scale_f32 v22, s[24:25], v21, v21, v6
	v_rcp_f32_e32 v23, v22
	s_nop 0
	v_fma_f32 v24, -v22, v23, 1.0
	v_fmac_f32_e32 v23, v24, v23
	v_div_scale_f32 v24, vcc, v6, v21, v6
	v_mul_f32_e32 v25, v24, v23
	v_fma_f32 v26, -v22, v25, v24
	v_fmac_f32_e32 v25, v26, v23
	v_fma_f32 v22, -v22, v25, v24
	v_div_fmas_f32 v22, v22, v23, v25
	v_div_fixup_f32 v6, v22, v21, v6
	v_bfe_u32 v21, v6, 16, 1
	v_add3_u32 v21, v6, v21, s31
	v_and_b32_e32 v21, 0xffff0000, v21
	v_cmp_o_f32_e32 vcc, v6, v6
	s_nop 1
	v_cndmask_b32_e32 v6, v1, v21, vcc
	v_lshlrev_b32_e32 v21, 16, v3
	v_mul_f32_e32 v6, v6, v21
	v_bfe_u32 v21, v6, 16, 1
	v_add3_u32 v21, v6, v21, s31
	v_and_b32_e32 v21, 0xffff0000, v21
	v_cmp_o_f32_e32 vcc, v6, v6
	s_nop 1
	v_cndmask_b32_e32 v6, v1, v21, vcc
	v_mul_f32_e32 v6, v10, v6
	v_min_f32_e32 v6, 0x43e00000, v6
	v_max_f32_e32 v22, 0xc3e00000, v6
	v_and_b32_e32 v23, 0x7fffffff, v22
	v_cmp_gt_u32_e32 vcc, s36, v23
	v_mov_b32_e32 v21, 0x7f
	v_mov_b32_e32 v6, 0x7f
	s_and_saveexec_b64 s[24:25], vcc
	s_cbranch_execz .LBB4_24
; %bb.19:                               ;   in Loop: Header=BB4_6 Depth=1
	v_cmp_lt_u32_e32 vcc, s37, v23
                                        ; implicit-def: $vgpr6
	s_and_saveexec_b64 s[26:27], vcc
	s_xor_b64 s[26:27], exec, s[26:27]
; %bb.20:                               ;   in Loop: Header=BB4_6 Depth=1
	v_bfe_u32 v6, v22, 20, 1
	v_add3_u32 v6, v22, v6, s38
	v_lshrrev_b32_e32 v6, 20, v6
; %bb.21:                               ;   in Loop: Header=BB4_6 Depth=1
	s_andn2_saveexec_b64 s[26:27], s[26:27]
; %bb.22:                               ;   in Loop: Header=BB4_6 Depth=1
	v_add_f32_e64 v6, |v22|, s39
; %bb.23:                               ;   in Loop: Header=BB4_6 Depth=1
	s_or_b64 exec, exec, s[26:27]
.LBB4_24:                               ;   in Loop: Header=BB4_6 Depth=1
	s_or_b64 exec, exec, s[24:25]
	v_and_b32_e32 v7, 0xffff0000, v7
	v_xor_b32_e32 v23, 0x80000000, v7
	v_bfe_u32 v24, v23, 16, 1
	v_add3_u32 v23, v23, v24, s31
	v_and_b32_e32 v23, 0xffff0000, v23
	v_cmp_o_f32_e32 vcc, v7, v7
	v_and_b32_e32 v3, 0xffff0000, v3
	s_nop 0
	v_cndmask_b32_e32 v23, v1, v23, vcc
	v_mul_f32_e32 v24, 0x3fb8aa3b, v23
	v_fma_f32 v25, v23, s33, -v24
	v_rndne_f32_e32 v26, v24
	v_fmac_f32_e32 v25, 0x32a5705f, v23
	v_sub_f32_e32 v24, v24, v26
	v_add_f32_e32 v24, v24, v25
	v_exp_f32_e32 v24, v24
	v_cvt_i32_f32_e32 v25, v26
	v_cmp_ngt_f32_e32 vcc, s34, v23
	v_ldexp_f32 v24, v24, v25
	s_nop 0
	v_cndmask_b32_e32 v24, 0, v24, vcc
	v_cmp_nlt_f32_e32 vcc, s35, v23
	s_nop 1
	v_cndmask_b32_e32 v23, v17, v24, vcc
	v_add_f32_e32 v23, 1.0, v23
	v_div_scale_f32 v24, s[24:25], v23, v23, v7
	v_rcp_f32_e32 v25, v24
	s_nop 0
	v_fma_f32 v26, -v24, v25, 1.0
	v_fmac_f32_e32 v25, v26, v25
	v_div_scale_f32 v26, vcc, v7, v23, v7
	v_mul_f32_e32 v27, v26, v25
	v_fma_f32 v28, -v24, v27, v26
	v_fmac_f32_e32 v27, v28, v25
	v_fma_f32 v24, -v24, v27, v26
	v_div_fmas_f32 v24, v24, v25, v27
	v_div_fixup_f32 v7, v24, v23, v7
	v_bfe_u32 v23, v7, 16, 1
	v_add3_u32 v23, v7, v23, s31
	v_and_b32_e32 v23, 0xffff0000, v23
	v_cmp_o_f32_e32 vcc, v7, v7
	s_nop 1
	v_cndmask_b32_e32 v7, v1, v23, vcc
	v_mul_f32_e32 v3, v7, v3
	v_bfe_u32 v7, v3, 16, 1
	v_add3_u32 v7, v3, v7, s31
	v_and_b32_e32 v7, 0xffff0000, v7
	v_cmp_o_f32_e32 vcc, v3, v3
	s_nop 1
	v_cndmask_b32_e32 v3, v1, v7, vcc
	v_mul_f32_e32 v3, v10, v3
	v_min_f32_e32 v3, 0x43e00000, v3
	v_max_f32_e32 v3, 0xc3e00000, v3
	v_and_b32_e32 v7, 0x7fffffff, v3
	v_cmp_gt_u32_e32 vcc, s36, v7
	s_and_saveexec_b64 s[24:25], vcc
	s_cbranch_execz .LBB4_30
; %bb.25:                               ;   in Loop: Header=BB4_6 Depth=1
	v_cmp_lt_u32_e32 vcc, s37, v7
                                        ; implicit-def: $vgpr21
	s_and_saveexec_b64 s[26:27], vcc
	s_xor_b64 s[26:27], exec, s[26:27]
; %bb.26:                               ;   in Loop: Header=BB4_6 Depth=1
	v_bfe_u32 v7, v3, 20, 1
	v_add3_u32 v7, v3, v7, s38
	v_lshrrev_b32_e32 v21, 20, v7
; %bb.27:                               ;   in Loop: Header=BB4_6 Depth=1
	s_andn2_saveexec_b64 s[26:27], s[26:27]
; %bb.28:                               ;   in Loop: Header=BB4_6 Depth=1
	v_add_f32_e64 v21, |v3|, s39
; %bb.29:                               ;   in Loop: Header=BB4_6 Depth=1
	s_or_b64 exec, exec, s[26:27]
.LBB4_30:                               ;   in Loop: Header=BB4_6 Depth=1
	s_or_b64 exec, exec, s[24:25]
	v_lshlrev_b32_e32 v7, 16, v8
	v_xor_b32_e32 v23, 0x80000000, v7
	v_bfe_u32 v24, v23, 16, 1
	v_add3_u32 v23, v23, v24, s31
	v_and_b32_e32 v23, 0xffff0000, v23
	v_cmp_o_f32_e32 vcc, v7, v7
	s_nop 1
	v_cndmask_b32_e32 v23, v1, v23, vcc
	v_mul_f32_e32 v24, 0x3fb8aa3b, v23
	v_fma_f32 v25, v23, s33, -v24
	v_rndne_f32_e32 v26, v24
	v_fmac_f32_e32 v25, 0x32a5705f, v23
	v_sub_f32_e32 v24, v24, v26
	v_add_f32_e32 v24, v24, v25
	v_exp_f32_e32 v24, v24
	v_cvt_i32_f32_e32 v25, v26
	v_cmp_ngt_f32_e32 vcc, s34, v23
	v_ldexp_f32 v24, v24, v25
	s_nop 0
	v_cndmask_b32_e32 v24, 0, v24, vcc
	v_cmp_nlt_f32_e32 vcc, s35, v23
	s_nop 1
	v_cndmask_b32_e32 v23, v17, v24, vcc
	v_add_f32_e32 v23, 1.0, v23
	v_div_scale_f32 v24, s[24:25], v23, v23, v7
	v_rcp_f32_e32 v25, v24
	s_nop 0
	v_fma_f32 v26, -v24, v25, 1.0
	v_fmac_f32_e32 v25, v26, v25
	v_div_scale_f32 v26, vcc, v7, v23, v7
	v_mul_f32_e32 v27, v26, v25
	v_fma_f32 v28, -v24, v27, v26
	v_fmac_f32_e32 v27, v28, v25
	v_fma_f32 v24, -v24, v27, v26
	v_div_fmas_f32 v24, v24, v25, v27
	v_div_fixup_f32 v7, v24, v23, v7
	v_bfe_u32 v23, v7, 16, 1
	v_add3_u32 v23, v7, v23, s31
	v_and_b32_e32 v23, 0xffff0000, v23
	v_cmp_o_f32_e32 vcc, v7, v7
	s_nop 1
	v_cndmask_b32_e32 v7, v1, v23, vcc
	v_lshlrev_b32_e32 v23, 16, v4
	v_mul_f32_e32 v7, v7, v23
	v_bfe_u32 v23, v7, 16, 1
	v_add3_u32 v23, v7, v23, s31
	v_and_b32_e32 v23, 0xffff0000, v23
	v_cmp_o_f32_e32 vcc, v7, v7
	s_nop 1
	v_cndmask_b32_e32 v7, v1, v23, vcc
	v_mul_f32_e32 v7, v10, v7
	v_min_f32_e32 v7, 0x43e00000, v7
	v_max_f32_e32 v24, 0xc3e00000, v7
	v_and_b32_e32 v25, 0x7fffffff, v24
	v_cmp_gt_u32_e32 vcc, s36, v25
	v_mov_b32_e32 v23, 0x7f
	v_mov_b32_e32 v7, 0x7f
	s_and_saveexec_b64 s[24:25], vcc
	s_cbranch_execz .LBB4_36
; %bb.31:                               ;   in Loop: Header=BB4_6 Depth=1
	v_cmp_lt_u32_e32 vcc, s37, v25
                                        ; implicit-def: $vgpr7
	s_and_saveexec_b64 s[26:27], vcc
	s_xor_b64 s[26:27], exec, s[26:27]
; %bb.32:                               ;   in Loop: Header=BB4_6 Depth=1
	v_bfe_u32 v7, v24, 20, 1
	v_add3_u32 v7, v24, v7, s38
	v_lshrrev_b32_e32 v7, 20, v7
; %bb.33:                               ;   in Loop: Header=BB4_6 Depth=1
	s_andn2_saveexec_b64 s[26:27], s[26:27]
; %bb.34:                               ;   in Loop: Header=BB4_6 Depth=1
	v_add_f32_e64 v7, |v24|, s39
; %bb.35:                               ;   in Loop: Header=BB4_6 Depth=1
	s_or_b64 exec, exec, s[26:27]
.LBB4_36:                               ;   in Loop: Header=BB4_6 Depth=1
	s_or_b64 exec, exec, s[24:25]
	v_and_b32_e32 v8, 0xffff0000, v8
	v_xor_b32_e32 v25, 0x80000000, v8
	v_bfe_u32 v26, v25, 16, 1
	v_add3_u32 v25, v25, v26, s31
	v_and_b32_e32 v25, 0xffff0000, v25
	v_cmp_o_f32_e32 vcc, v8, v8
	v_and_b32_e32 v4, 0xffff0000, v4
	s_nop 0
	v_cndmask_b32_e32 v25, v1, v25, vcc
	v_mul_f32_e32 v26, 0x3fb8aa3b, v25
	v_fma_f32 v27, v25, s33, -v26
	v_rndne_f32_e32 v28, v26
	v_fmac_f32_e32 v27, 0x32a5705f, v25
	v_sub_f32_e32 v26, v26, v28
	v_add_f32_e32 v26, v26, v27
	v_exp_f32_e32 v26, v26
	v_cvt_i32_f32_e32 v27, v28
	v_cmp_ngt_f32_e32 vcc, s34, v25
	v_ldexp_f32 v26, v26, v27
	s_nop 0
	v_cndmask_b32_e32 v26, 0, v26, vcc
	v_cmp_nlt_f32_e32 vcc, s35, v25
	s_nop 1
	v_cndmask_b32_e32 v25, v17, v26, vcc
	v_add_f32_e32 v25, 1.0, v25
	v_div_scale_f32 v26, s[24:25], v25, v25, v8
	v_rcp_f32_e32 v27, v26
	s_nop 0
	v_fma_f32 v28, -v26, v27, 1.0
	v_fmac_f32_e32 v27, v28, v27
	v_div_scale_f32 v28, vcc, v8, v25, v8
	v_mul_f32_e32 v29, v28, v27
	v_fma_f32 v30, -v26, v29, v28
	v_fmac_f32_e32 v29, v30, v27
	v_fma_f32 v26, -v26, v29, v28
	v_div_fmas_f32 v26, v26, v27, v29
	v_div_fixup_f32 v8, v26, v25, v8
	v_bfe_u32 v25, v8, 16, 1
	v_add3_u32 v25, v8, v25, s31
	v_and_b32_e32 v25, 0xffff0000, v25
	v_cmp_o_f32_e32 vcc, v8, v8
	s_nop 1
	v_cndmask_b32_e32 v8, v1, v25, vcc
	v_mul_f32_e32 v4, v8, v4
	v_bfe_u32 v8, v4, 16, 1
	v_add3_u32 v8, v4, v8, s31
	v_and_b32_e32 v8, 0xffff0000, v8
	v_cmp_o_f32_e32 vcc, v4, v4
	s_nop 1
	v_cndmask_b32_e32 v4, v1, v8, vcc
	v_mul_f32_e32 v4, v10, v4
	v_min_f32_e32 v4, 0x43e00000, v4
	v_max_f32_e32 v4, 0xc3e00000, v4
	v_and_b32_e32 v8, 0x7fffffff, v4
	v_cmp_gt_u32_e32 vcc, s36, v8
	s_and_saveexec_b64 s[24:25], vcc
	s_cbranch_execz .LBB4_42
; %bb.37:                               ;   in Loop: Header=BB4_6 Depth=1
	v_cmp_lt_u32_e32 vcc, s37, v8
                                        ; implicit-def: $vgpr23
	s_and_saveexec_b64 s[26:27], vcc
	s_xor_b64 s[26:27], exec, s[26:27]
; %bb.38:                               ;   in Loop: Header=BB4_6 Depth=1
	v_bfe_u32 v8, v4, 20, 1
	v_add3_u32 v8, v4, v8, s38
	v_lshrrev_b32_e32 v23, 20, v8
; %bb.39:                               ;   in Loop: Header=BB4_6 Depth=1
	s_andn2_saveexec_b64 s[26:27], s[26:27]
; %bb.40:                               ;   in Loop: Header=BB4_6 Depth=1
	v_add_f32_e64 v23, |v4|, s39
; %bb.41:                               ;   in Loop: Header=BB4_6 Depth=1
	s_or_b64 exec, exec, s[26:27]
.LBB4_42:                               ;   in Loop: Header=BB4_6 Depth=1
	s_or_b64 exec, exec, s[24:25]
	v_lshlrev_b32_e32 v8, 16, v9
	v_xor_b32_e32 v25, 0x80000000, v8
	v_bfe_u32 v26, v25, 16, 1
	v_add3_u32 v25, v25, v26, s31
	v_and_b32_e32 v25, 0xffff0000, v25
	v_cmp_o_f32_e32 vcc, v8, v8
	s_nop 1
	v_cndmask_b32_e32 v25, v1, v25, vcc
	v_mul_f32_e32 v26, 0x3fb8aa3b, v25
	v_fma_f32 v27, v25, s33, -v26
	v_rndne_f32_e32 v28, v26
	v_fmac_f32_e32 v27, 0x32a5705f, v25
	v_sub_f32_e32 v26, v26, v28
	v_add_f32_e32 v26, v26, v27
	v_exp_f32_e32 v26, v26
	v_cvt_i32_f32_e32 v27, v28
	v_cmp_ngt_f32_e32 vcc, s34, v25
	v_ldexp_f32 v26, v26, v27
	s_nop 0
	v_cndmask_b32_e32 v26, 0, v26, vcc
	v_cmp_nlt_f32_e32 vcc, s35, v25
	s_nop 1
	v_cndmask_b32_e32 v25, v17, v26, vcc
	v_add_f32_e32 v25, 1.0, v25
	v_div_scale_f32 v26, s[24:25], v25, v25, v8
	v_rcp_f32_e32 v27, v26
	s_nop 0
	v_fma_f32 v28, -v26, v27, 1.0
	v_fmac_f32_e32 v27, v28, v27
	v_div_scale_f32 v28, vcc, v8, v25, v8
	v_mul_f32_e32 v29, v28, v27
	v_fma_f32 v30, -v26, v29, v28
	v_fmac_f32_e32 v29, v30, v27
	v_fma_f32 v26, -v26, v29, v28
	v_div_fmas_f32 v26, v26, v27, v29
	v_div_fixup_f32 v8, v26, v25, v8
	v_bfe_u32 v25, v8, 16, 1
	v_add3_u32 v25, v8, v25, s31
	v_and_b32_e32 v25, 0xffff0000, v25
	v_cmp_o_f32_e32 vcc, v8, v8
	v_mov_b32_e32 v26, 0x7f
	s_nop 0
	v_cndmask_b32_e32 v8, v1, v25, vcc
	v_lshlrev_b32_e32 v25, 16, v5
	v_mul_f32_e32 v8, v8, v25
	v_bfe_u32 v25, v8, 16, 1
	v_add3_u32 v25, v8, v25, s31
	v_and_b32_e32 v25, 0xffff0000, v25
	v_cmp_o_f32_e32 vcc, v8, v8
	s_nop 1
	v_cndmask_b32_e32 v8, v1, v25, vcc
	v_mul_f32_e32 v8, v10, v8
	v_min_f32_e32 v8, 0x43e00000, v8
	v_max_f32_e32 v8, 0xc3e00000, v8
	v_and_b32_e32 v27, 0x7fffffff, v8
	v_cmp_gt_u32_e32 vcc, s36, v27
	v_mov_b32_e32 v25, 0x7f
	s_and_saveexec_b64 s[24:25], vcc
	s_cbranch_execz .LBB4_48
; %bb.43:                               ;   in Loop: Header=BB4_6 Depth=1
	v_cmp_lt_u32_e32 vcc, s37, v27
                                        ; implicit-def: $vgpr25
	s_and_saveexec_b64 s[26:27], vcc
	s_xor_b64 s[26:27], exec, s[26:27]
; %bb.44:                               ;   in Loop: Header=BB4_6 Depth=1
	v_bfe_u32 v25, v8, 20, 1
	v_add3_u32 v25, v8, v25, s38
	v_lshrrev_b32_e32 v25, 20, v25
; %bb.45:                               ;   in Loop: Header=BB4_6 Depth=1
	s_andn2_saveexec_b64 s[26:27], s[26:27]
; %bb.46:                               ;   in Loop: Header=BB4_6 Depth=1
	v_add_f32_e64 v25, |v8|, s39
; %bb.47:                               ;   in Loop: Header=BB4_6 Depth=1
	s_or_b64 exec, exec, s[26:27]
.LBB4_48:                               ;   in Loop: Header=BB4_6 Depth=1
	s_or_b64 exec, exec, s[24:25]
	v_and_b32_e32 v9, 0xffff0000, v9
	v_xor_b32_e32 v27, 0x80000000, v9
	v_bfe_u32 v28, v27, 16, 1
	v_add3_u32 v27, v27, v28, s31
	v_and_b32_e32 v27, 0xffff0000, v27
	v_cmp_o_f32_e32 vcc, v9, v9
	v_and_b32_e32 v5, 0xffff0000, v5
	s_nop 0
	v_cndmask_b32_e32 v27, v1, v27, vcc
	v_mul_f32_e32 v28, 0x3fb8aa3b, v27
	v_fma_f32 v29, v27, s33, -v28
	v_rndne_f32_e32 v30, v28
	v_fmac_f32_e32 v29, 0x32a5705f, v27
	v_sub_f32_e32 v28, v28, v30
	v_add_f32_e32 v28, v28, v29
	v_exp_f32_e32 v28, v28
	v_cvt_i32_f32_e32 v29, v30
	v_cmp_ngt_f32_e32 vcc, s34, v27
	v_ldexp_f32 v28, v28, v29
	s_nop 0
	v_cndmask_b32_e32 v28, 0, v28, vcc
	v_cmp_nlt_f32_e32 vcc, s35, v27
	s_nop 1
	v_cndmask_b32_e32 v27, v17, v28, vcc
	v_add_f32_e32 v27, 1.0, v27
	v_div_scale_f32 v28, s[24:25], v27, v27, v9
	v_rcp_f32_e32 v29, v28
	s_nop 0
	v_fma_f32 v30, -v28, v29, 1.0
	v_fmac_f32_e32 v29, v30, v29
	v_div_scale_f32 v30, vcc, v9, v27, v9
	v_mul_f32_e32 v31, v30, v29
	v_fma_f32 v32, -v28, v31, v30
	v_fmac_f32_e32 v31, v32, v29
	v_fma_f32 v28, -v28, v31, v30
	v_div_fmas_f32 v28, v28, v29, v31
	v_div_fixup_f32 v9, v28, v27, v9
	v_bfe_u32 v27, v9, 16, 1
	v_add3_u32 v27, v9, v27, s31
	v_and_b32_e32 v27, 0xffff0000, v27
	v_cmp_o_f32_e32 vcc, v9, v9
	s_nop 1
	v_cndmask_b32_e32 v9, v1, v27, vcc
	v_mul_f32_e32 v5, v9, v5
	v_bfe_u32 v9, v5, 16, 1
	v_add3_u32 v9, v5, v9, s31
	v_and_b32_e32 v9, 0xffff0000, v9
	v_cmp_o_f32_e32 vcc, v5, v5
	s_nop 1
	v_cndmask_b32_e32 v5, v1, v9, vcc
	v_mul_f32_e32 v5, v10, v5
	v_min_f32_e32 v5, 0x43e00000, v5
	v_max_f32_e32 v5, 0xc3e00000, v5
	v_and_b32_e32 v9, 0x7fffffff, v5
	v_cmp_gt_u32_e32 vcc, s36, v9
	s_and_saveexec_b64 s[24:25], vcc
	s_cbranch_execz .LBB4_5
; %bb.49:                               ;   in Loop: Header=BB4_6 Depth=1
	v_cmp_lt_u32_e32 vcc, s37, v9
                                        ; implicit-def: $vgpr26
	s_and_saveexec_b64 s[26:27], vcc
	s_xor_b64 s[26:27], exec, s[26:27]
; %bb.50:                               ;   in Loop: Header=BB4_6 Depth=1
	v_bfe_u32 v9, v5, 20, 1
	v_add3_u32 v9, v5, v9, s38
	v_lshrrev_b32_e32 v26, 20, v9
; %bb.51:                               ;   in Loop: Header=BB4_6 Depth=1
	s_andn2_saveexec_b64 s[26:27], s[26:27]
	s_cbranch_execz .LBB4_4
; %bb.52:                               ;   in Loop: Header=BB4_6 Depth=1
	v_add_f32_e64 v26, |v5|, s39
	s_branch .LBB4_4
.LBB4_53:
	s_or_b64 exec, exec, s[0:1]
	s_sub_i32 s0, 8, s7
	s_cmp_gt_i32 s6, s0
	s_cbranch_scc0 .LBB4_74
; %bb.54:
	v_add_u32_e32 v0, s0, v0
	v_cmp_gt_i32_e32 vcc, s6, v0
	s_and_saveexec_b64 s[0:1], vcc
	s_cbranch_execz .LBB4_74
; %bb.55:
	s_load_dword s0, s[14:15], 0xc
	s_mov_b32 s15, 0
	v_mov_b32_e32 v1, 0
	s_ashr_i32 s7, s6, 31
	v_mov_b32_e32 v2, s7
	s_waitcnt lgkmcnt(0)
	s_and_b32 s14, s0, 0xffff
	v_lshl_add_u64 v[4:5], s[14:15], 0, v[0:1]
	v_cmp_gt_i64_e32 vcc, s[6:7], v[4:5]
	v_mov_b32_e32 v3, s15
	v_cmp_gt_u16_e64 s[0:1], s0, 1
	v_cndmask_b32_e32 v6, v5, v2, vcc
	v_mov_b32_e32 v2, s6
	v_cndmask_b32_e32 v7, v4, v2, vcc
	v_cndmask_b32_e64 v2, 0, 1, vcc
	v_lshl_add_u64 v[4:5], v[4:5], 0, v[2:3]
	v_sub_co_u32_e32 v8, vcc, v7, v4
	s_and_b64 s[0:1], s[0:1], exec
	s_nop 0
	v_subb_co_u32_e32 v5, vcc, v6, v5, vcc
	v_mov_b32_e32 v4, v1
	s_cselect_b32 s0, 0, 0
	s_cselect_b32 s16, s14, 1
	v_cmp_ne_u64_e32 vcc, 0, v[4:5]
                                        ; implicit-def: $vgpr6_vgpr7
	s_and_saveexec_b64 s[4:5], vcc
	s_xor_b64 s[4:5], exec, s[4:5]
	s_cbranch_execz .LBB4_57
; %bb.56:
	v_cvt_f32_u32_e32 v4, s16
	v_mov_b32_e32 v6, 0x4f800000
	s_sub_u32 s1, 0, s16
	s_subb_u32 s0, 0, s0
	v_fmac_f32_e32 v4, 0, v6
	v_rcp_f32_e32 v4, v4
	s_nop 0
	v_mul_f32_e32 v4, 0x5f7ffffc, v4
	v_mul_f32_e32 v6, 0x2f800000, v4
	v_trunc_f32_e32 v6, v6
	v_fmamk_f32 v4, v6, 0xcf800000, v4
	v_cvt_u32_f32_e32 v9, v6
	v_cvt_u32_f32_e32 v4, v4
	v_mul_lo_u32 v6, s1, v9
	v_mul_hi_u32 v11, s1, v4
	v_mul_lo_u32 v7, s0, v4
	v_add_u32_e32 v11, v11, v6
	v_mul_lo_u32 v14, s1, v4
	v_add_u32_e32 v11, v11, v7
	v_mul_hi_u32 v6, v4, v14
	v_mul_hi_u32 v13, v4, v11
	v_mul_lo_u32 v12, v4, v11
	v_mov_b32_e32 v7, v1
	v_lshl_add_u64 v[6:7], v[6:7], 0, v[12:13]
	v_mul_hi_u32 v13, v9, v14
	v_mul_lo_u32 v14, v9, v14
	v_add_co_u32_e32 v6, vcc, v6, v14
	v_mul_hi_u32 v12, v9, v11
	s_nop 0
	v_addc_co_u32_e32 v6, vcc, v7, v13, vcc
	v_mov_b32_e32 v7, v1
	s_nop 0
	v_addc_co_u32_e32 v13, vcc, 0, v12, vcc
	v_mul_lo_u32 v12, v9, v11
	v_lshl_add_u64 v[6:7], v[6:7], 0, v[12:13]
	v_add_co_u32_e32 v4, vcc, v4, v6
	v_mul_lo_u32 v12, s1, v4
	s_nop 0
	v_addc_co_u32_e32 v9, vcc, v9, v7, vcc
	v_mul_lo_u32 v6, s1, v9
	v_mul_hi_u32 v7, s1, v4
	v_add_u32_e32 v6, v7, v6
	v_mul_lo_u32 v7, s0, v4
	v_add_u32_e32 v11, v6, v7
	v_mul_hi_u32 v15, v9, v12
	v_mul_lo_u32 v16, v9, v12
	v_mul_hi_u32 v7, v4, v11
	v_mul_lo_u32 v6, v4, v11
	v_mul_hi_u32 v12, v4, v12
	v_mov_b32_e32 v13, v1
	v_lshl_add_u64 v[6:7], v[12:13], 0, v[6:7]
	v_add_co_u32_e32 v6, vcc, v6, v16
	v_mul_hi_u32 v14, v9, v11
	s_nop 0
	v_addc_co_u32_e32 v6, vcc, v7, v15, vcc
	v_mul_lo_u32 v12, v9, v11
	s_nop 0
	v_addc_co_u32_e32 v13, vcc, 0, v14, vcc
	v_mov_b32_e32 v7, v1
	v_lshl_add_u64 v[6:7], v[6:7], 0, v[12:13]
	v_add_co_u32_e32 v4, vcc, v4, v6
	v_mul_hi_u32 v12, v8, v4
	s_nop 0
	v_addc_co_u32_e32 v9, vcc, v9, v7, vcc
	v_mad_u64_u32 v[6:7], s[0:1], v8, v9, 0
	v_mov_b32_e32 v13, v1
	v_lshl_add_u64 v[6:7], v[12:13], 0, v[6:7]
	v_mad_u64_u32 v[14:15], s[0:1], v5, v4, 0
	v_add_co_u32_e32 v4, vcc, v6, v14
	v_mad_u64_u32 v[12:13], s[0:1], v5, v9, 0
	s_nop 0
	v_addc_co_u32_e32 v6, vcc, v7, v15, vcc
	v_mov_b32_e32 v7, v1
	s_nop 0
	v_addc_co_u32_e32 v13, vcc, 0, v13, vcc
	v_lshl_add_u64 v[6:7], v[6:7], 0, v[12:13]
	v_mad_u64_u32 v[12:13], s[0:1], s16, v6, 0
	v_mov_b32_e32 v4, v13
	v_mad_u64_u32 v[14:15], s[0:1], s16, v7, v[4:5]
	v_sub_co_u32_e32 v11, vcc, v8, v12
	v_lshl_add_u64 v[8:9], v[6:7], 0, 1
	s_nop 0
	v_subb_co_u32_e32 v12, vcc, v5, v14, vcc
	v_subrev_co_u32_e32 v4, vcc, s16, v11
	v_cmp_le_u32_e64 s[0:1], s16, v11
	s_nop 0
	v_subbrev_co_u32_e32 v5, vcc, 0, v12, vcc
	v_cmp_le_u32_e32 vcc, s16, v4
	s_nop 1
	v_cndmask_b32_e64 v4, 0, -1, vcc
	v_cmp_eq_u32_e32 vcc, 0, v5
	s_nop 1
	v_cndmask_b32_e32 v13, -1, v4, vcc
	v_lshl_add_u64 v[4:5], v[6:7], 0, 2
	v_cmp_ne_u32_e32 vcc, 0, v13
	s_nop 1
	v_cndmask_b32_e32 v5, v9, v5, vcc
	v_cndmask_b32_e64 v9, 0, -1, s[0:1]
	v_cmp_eq_u32_e64 s[0:1], 0, v12
	v_cndmask_b32_e32 v4, v8, v4, vcc
                                        ; implicit-def: $vgpr8
	s_nop 0
	v_cndmask_b32_e64 v9, -1, v9, s[0:1]
	v_cmp_ne_u32_e64 s[0:1], 0, v9
	s_nop 1
	v_cndmask_b32_e64 v7, v7, v5, s[0:1]
	v_cndmask_b32_e64 v6, v6, v4, s[0:1]
.LBB4_57:
	s_andn2_saveexec_b64 s[0:1], s[4:5]
	s_cbranch_execz .LBB4_59
; %bb.58:
	v_cvt_f32_u32_e32 v4, s16
	s_sub_i32 s4, 0, s16
	v_rcp_iflag_f32_e32 v4, v4
	s_nop 0
	v_mul_f32_e32 v4, 0x4f7ffffe, v4
	v_cvt_u32_f32_e32 v4, v4
	v_mul_lo_u32 v5, s4, v4
	v_mul_hi_u32 v5, v4, v5
	v_add_u32_e32 v4, v4, v5
	v_mul_hi_u32 v4, v8, v4
	v_mul_lo_u32 v5, v4, s16
	v_sub_u32_e32 v5, v8, v5
	v_add_u32_e32 v6, 1, v4
	v_subrev_u32_e32 v7, s16, v5
	v_cmp_le_u32_e32 vcc, s16, v5
	s_nop 1
	v_cndmask_b32_e32 v5, v5, v7, vcc
	v_cndmask_b32_e32 v4, v4, v6, vcc
	v_add_u32_e32 v6, 1, v4
	v_cmp_le_u32_e32 vcc, s16, v5
	v_mov_b32_e32 v7, 0
	s_nop 0
	v_cndmask_b32_e32 v6, v4, v6, vcc
.LBB4_59:
	s_or_b64 exec, exec, s[0:1]
	v_lshl_add_u64 v[2:3], v[6:7], 0, v[2:3]
	v_lshl_add_u64 v[2:3], v[2:3], 0, 1
	v_cmp_gt_u64_e32 vcc, 4, v[2:3]
	v_cmp_ne_u16_e64 s[0:1], s14, 1
	s_or_b64 s[18:19], vcc, s[0:1]
	s_mov_b64 s[16:17], 0
                                        ; implicit-def: $sgpr4_sgpr5
                                        ; implicit-def: $sgpr0_sgpr1
	s_and_saveexec_b64 s[20:21], s[18:19]
	s_xor_b64 s[18:19], exec, s[20:21]
; %bb.60:
	s_lshl_b64 s[0:1], s[2:3], 2
	s_or_b32 s0, s0, 2
	s_mul_i32 s4, s0, s29
	s_mul_hi_u32 s5, s0, s28
	s_add_i32 s4, s5, s4
	s_mul_i32 s1, s1, s28
	s_mov_b64 s[16:17], exec
	s_add_i32 s5, s4, s1
	s_mul_i32 s4, s0, s28
	s_lshl_b64 s[0:1], s[12:13], 2
                                        ; implicit-def: $vgpr2_vgpr3
; %bb.61:
	s_or_saveexec_b64 s[18:19], s[18:19]
	v_mov_b64_e32 v[4:5], s[4:5]
	v_mov_b64_e32 v[6:7], s[0:1]
	s_xor_b64 exec, exec, s[18:19]
	s_cbranch_execz .LBB4_65
; %bb.62:
	s_lshl_b64 s[0:1], s[2:3], 2
	s_or_b32 s0, s0, 2
	s_mul_i32 s2, s0, s29
	s_mul_hi_u32 s3, s0, s28
	s_add_i32 s2, s3, s2
	s_mul_i32 s1, s1, s28
	s_lshl_b64 s[20:21], s[12:13], 2
	s_lshl_b32 s22, s14, 3
	s_add_i32 s25, s2, s1
	s_mul_i32 s24, s0, s28
	s_add_u32 s0, s8, s12
	v_and_b32_e32 v4, -4, v2
	v_mov_b32_e32 v5, v3
	v_lshlrev_b32_e32 v6, 1, v0
	s_mov_b32 s23, 0
	v_mov_b32_e32 v7, 0
	s_addc_u32 s1, s9, s13
	v_mov_b32_e32 v11, v10
	v_lshl_add_u64 v[6:7], s[10:11], 0, v[6:7]
	v_lshl_add_u64 v[8:9], s[0:1], 0, v[0:1]
	s_lshl_b32 s26, s14, 2
	s_mov_b32 s27, s23
	s_mov_b64 s[28:29], 0
	s_movk_i32 s31, 0x7fff
	v_mov_b32_e32 v20, 0x7fc00000
	s_mov_b32 s33, 0x3fb8aa3b
	s_mov_b32 s34, 0xc2ce8ed0
	;; [unrolled: 1-line block ×3, first 2 shown]
	v_mov_b32_e32 v21, 0x7f800000
	v_mov_b32_e32 v12, v10
	;; [unrolled: 1-line block ×3, first 2 shown]
	s_mov_b32 s36, 0x43f00000
	s_mov_b32 s37, 0x7700000
	;; [unrolled: 1-line block ×4, first 2 shown]
	v_mov_b32_e32 v22, 0x7f
	s_movk_i32 s39, 0x80
	v_mov_b64_e32 v[14:15], v[4:5]
.LBB4_63:                               ; =>This Inner Loop Header: Depth=1
	v_lshl_add_u64 v[16:17], v[6:7], 0, s[20:21]
	v_lshl_add_u64 v[18:19], v[6:7], 0, s[24:25]
	global_load_dwordx2 v[24:25], v[16:17], off
	global_load_dwordx2 v[26:27], v[18:19], off
	v_lshl_add_u64 v[14:15], v[14:15], 0, -4
	v_cmp_eq_u64_e32 vcc, 0, v[14:15]
	s_or_b64 s[28:29], vcc, s[28:29]
	v_lshl_add_u64 v[6:7], v[6:7], 0, s[22:23]
	s_waitcnt vmcnt(1)
	v_and_b32_e32 v23, 0xffff0000, v24
	v_lshlrev_b32_e32 v28, 16, v24
	v_and_b32_e32 v29, 0xffff0000, v25
	v_lshlrev_b32_e32 v30, 16, v25
	s_waitcnt vmcnt(0)
	v_and_b32_e32 v19, 0xffff0000, v26
	v_lshlrev_b32_e32 v18, 16, v26
	v_and_b32_e32 v17, 0xffff0000, v27
	v_lshlrev_b32_e32 v16, 16, v27
	v_xor_b32_e32 v26, 0x80000000, v28
	v_xor_b32_e32 v27, 0x80000000, v23
	;; [unrolled: 1-line block ×4, first 2 shown]
	v_bfe_u32 v31, v27, 16, 1
	v_bfe_u32 v32, v26, 16, 1
	;; [unrolled: 1-line block ×4, first 2 shown]
	v_add3_u32 v26, v26, v32, s31
	v_add3_u32 v27, v27, v31, s31
	;; [unrolled: 1-line block ×4, first 2 shown]
	v_and_b32_e32 v27, 0xffff0000, v27
	v_and_b32_e32 v26, 0xffff0000, v26
	v_cmp_o_f32_e64 s[0:1], v28, v28
	v_cmp_o_f32_e64 s[2:3], v23, v23
	v_and_b32_e32 v25, 0xffff0000, v25
	v_and_b32_e32 v24, 0xffff0000, v24
	v_cmp_o_f32_e32 vcc, v29, v29
	v_cmp_o_f32_e64 s[4:5], v30, v30
	v_cndmask_b32_e64 v26, v20, v26, s[0:1]
	v_cndmask_b32_e64 v27, v20, v27, s[2:3]
	;; [unrolled: 1-line block ×3, first 2 shown]
	v_cndmask_b32_e32 v25, v20, v25, vcc
	v_mul_f32_e32 v31, 0x3fb8aa3b, v27
	v_mul_f32_e32 v32, 0x3fb8aa3b, v26
	;; [unrolled: 1-line block ×4, first 2 shown]
	v_fma_f32 v35, v27, s33, -v31
	v_rndne_f32_e32 v36, v31
	v_fma_f32 v37, v26, s33, -v32
	v_rndne_f32_e32 v38, v32
	;; [unrolled: 2-line block ×4, first 2 shown]
	v_fmac_f32_e32 v35, 0x32a5705f, v27
	v_sub_f32_e32 v31, v31, v36
	v_fmac_f32_e32 v37, 0x32a5705f, v26
	v_sub_f32_e32 v32, v32, v38
	;; [unrolled: 2-line block ×4, first 2 shown]
	v_add_f32_e32 v31, v31, v35
	v_add_f32_e32 v32, v32, v37
	v_cvt_i32_f32_e32 v36, v36
	v_cvt_i32_f32_e32 v38, v38
	v_add_f32_e32 v33, v33, v39
	v_add_f32_e32 v34, v34, v41
	v_exp_f32_e32 v31, v31
	v_exp_f32_e32 v32, v32
	v_cvt_i32_f32_e32 v40, v40
	v_cvt_i32_f32_e32 v42, v42
	v_exp_f32_e32 v33, v33
	v_exp_f32_e32 v34, v34
	v_ldexp_f32 v31, v31, v36
	v_ldexp_f32 v32, v32, v38
	v_cmp_ngt_f32_e32 vcc, s34, v26
	v_cmp_ngt_f32_e64 s[4:5], s34, v27
	v_ldexp_f32 v33, v33, v40
	v_cmp_ngt_f32_e64 s[0:1], s34, v25
	v_ldexp_f32 v34, v34, v42
	v_cmp_ngt_f32_e64 s[2:3], s34, v24
	v_cndmask_b32_e64 v31, 0, v31, s[4:5]
	v_cndmask_b32_e32 v32, 0, v32, vcc
	v_cmp_nlt_f32_e32 vcc, s35, v26
	v_cmp_nlt_f32_e64 s[4:5], s35, v27
	v_cndmask_b32_e64 v26, 0, v33, s[0:1]
	v_cmp_nlt_f32_e64 s[0:1], s35, v25
	v_cndmask_b32_e64 v33, 0, v34, s[2:3]
	v_cmp_nlt_f32_e64 s[2:3], s35, v24
	v_cndmask_b32_e64 v25, v21, v31, s[4:5]
	v_cndmask_b32_e32 v24, v21, v32, vcc
	v_pk_add_f32 v[24:25], v[24:25], 1.0 op_sel_hi:[1,0]
	v_cndmask_b32_e64 v27, v21, v26, s[0:1]
	v_cndmask_b32_e64 v26, v21, v33, s[2:3]
	v_div_scale_f32 v31, s[0:1], v25, v25, v23
	v_pk_add_f32 v[26:27], v[26:27], 1.0 op_sel_hi:[1,0]
	v_div_scale_f32 v33, s[0:1], v24, v24, v28
	v_rcp_f32_e32 v39, v31
	v_div_scale_f32 v35, s[2:3], v27, v27, v29
	v_rcp_f32_e32 v40, v33
	;; [unrolled: 2-line block ×3, first 2 shown]
	v_rcp_f32_e32 v42, v37
	v_fma_f32 v43, -v31, v39, 1.0
	v_div_scale_f32 v32, vcc, v23, v25, v23
	v_fma_f32 v44, -v33, v40, 1.0
	v_fmac_f32_e32 v39, v43, v39
	v_div_scale_f32 v34, s[0:1], v28, v24, v28
	v_fma_f32 v45, -v35, v41, 1.0
	v_fmac_f32_e32 v40, v44, v40
	v_mul_f32_e32 v43, v32, v39
	v_div_scale_f32 v36, s[2:3], v29, v27, v29
	v_fma_f32 v46, -v37, v42, 1.0
	v_fmac_f32_e32 v41, v45, v41
	v_mul_f32_e32 v44, v34, v40
	v_fma_f32 v47, -v31, v43, v32
	v_div_scale_f32 v38, s[4:5], v30, v26, v30
	v_fmac_f32_e32 v42, v46, v42
	v_mul_f32_e32 v45, v36, v41
	v_fma_f32 v48, -v33, v44, v34
	v_fmac_f32_e32 v43, v47, v39
	v_mul_f32_e32 v46, v38, v42
	v_fma_f32 v49, -v35, v45, v36
	v_fmac_f32_e32 v44, v48, v40
	v_fma_f32 v31, -v31, v43, v32
	v_fma_f32 v50, -v37, v46, v38
	v_fmac_f32_e32 v45, v49, v41
	v_fma_f32 v32, -v33, v44, v34
	v_div_fmas_f32 v31, v31, v39, v43
	s_mov_b64 vcc, s[0:1]
	v_fmac_f32_e32 v46, v50, v42
	v_fma_f32 v33, -v35, v45, v36
	v_div_fixup_f32 v23, v31, v25, v23
	v_div_fmas_f32 v25, v32, v40, v44
	s_mov_b64 vcc, s[2:3]
	v_fma_f32 v34, -v37, v46, v38
	v_div_fixup_f32 v24, v25, v24, v28
	v_div_fmas_f32 v25, v33, v41, v45
	v_bfe_u32 v28, v23, 16, 1
	s_mov_b64 vcc, s[4:5]
	v_div_fixup_f32 v27, v25, v27, v29
	v_div_fmas_f32 v25, v34, v42, v46
	v_bfe_u32 v29, v24, 16, 1
	v_add3_u32 v28, v23, v28, s31
	v_div_fixup_f32 v26, v25, v26, v30
	v_bfe_u32 v25, v27, 16, 1
	v_add3_u32 v29, v24, v29, s31
	v_and_b32_e32 v28, 0xffff0000, v28
	v_cmp_o_f32_e32 vcc, v23, v23
	v_bfe_u32 v23, v26, 16, 1
	v_add3_u32 v30, v27, v25, s31
	v_and_b32_e32 v29, 0xffff0000, v29
	v_cndmask_b32_e32 v25, v20, v28, vcc
	v_cmp_o_f32_e32 vcc, v24, v24
	v_add3_u32 v23, v26, v23, s31
	v_and_b32_e32 v28, 0xffff0000, v30
	v_cndmask_b32_e32 v24, v20, v29, vcc
	v_cmp_o_f32_e32 vcc, v27, v27
	v_and_b32_e32 v23, 0xffff0000, v23
	v_pk_mul_f32 v[18:19], v[24:25], v[18:19]
	v_cndmask_b32_e32 v27, v20, v28, vcc
	v_cmp_o_f32_e32 vcc, v26, v26
	v_bfe_u32 v24, v19, 16, 1
	v_add3_u32 v24, v19, v24, s31
	v_cndmask_b32_e32 v26, v20, v23, vcc
	v_bfe_u32 v23, v18, 16, 1
	v_pk_mul_f32 v[16:17], v[26:27], v[16:17]
	v_add3_u32 v23, v18, v23, s31
	v_bfe_u32 v25, v16, 16, 1
	v_bfe_u32 v26, v17, 16, 1
	v_and_b32_e32 v23, 0xffff0000, v23
	v_and_b32_e32 v24, 0xffff0000, v24
	v_cmp_o_f32_e32 vcc, v18, v18
	v_cmp_o_f32_e64 s[0:1], v19, v19
	v_add3_u32 v26, v17, v26, s31
	v_add3_u32 v25, v16, v25, s31
	v_cndmask_b32_e64 v19, v20, v24, s[0:1]
	v_cndmask_b32_e32 v18, v20, v23, vcc
	v_and_b32_e32 v23, 0xffff0000, v25
	v_and_b32_e32 v24, 0xffff0000, v26
	v_cmp_o_f32_e32 vcc, v16, v16
	v_pk_mul_f32 v[18:19], v[10:11], v[18:19]
	v_cmp_o_f32_e64 s[0:1], v17, v17
	v_cndmask_b32_e32 v16, v20, v23, vcc
	v_min_f32_e32 v19, 0x43e00000, v19
	v_cndmask_b32_e64 v17, v20, v24, s[0:1]
	v_min_f32_e32 v18, 0x43e00000, v18
	v_pk_mul_f32 v[16:17], v[12:13], v[16:17]
	v_max_f32_e32 v19, 0xc3e00000, v19
	v_max_f32_e32 v18, 0xc3e00000, v18
	v_min_f32_e32 v23, 0x43e00000, v17
	v_and_b32_e32 v17, 0x7fffffff, v19
	v_min_f32_e32 v24, 0x43e00000, v16
	v_and_b32_e32 v16, 0x7fffffff, v18
	v_bfe_u32 v25, v19, 20, 1
	v_bfe_u32 v26, v18, 20, 1
	v_max_f32_e32 v23, 0xc3e00000, v23
	v_add_u32_e32 v31, 0xc3800000, v17
	v_max_f32_e32 v27, 0xc3e00000, v24
	v_add_u32_e32 v30, 0xc3800000, v16
	v_add3_u32 v26, v18, v26, s38
	v_add3_u32 v32, v19, v25, s38
	v_and_b32_e32 v25, 0x7fffffff, v23
	v_cmp_gt_u32_e32 vcc, s37, v31
	v_bfe_u32 v31, v23, 20, 1
	v_lshrrev_b32_e32 v28, 24, v19
	v_lshrrev_b32_e32 v29, 24, v18
	v_pk_add_f32 v[18:19], v[16:17], s[30:31] op_sel_hi:[1,0]
	v_and_b32_e32 v24, 0x7fffffff, v27
	v_lshrrev_b32_e32 v32, 20, v32
	v_bfe_u32 v33, v27, 20, 1
	v_lshrrev_b32_e32 v26, 20, v26
	v_lshrrev_b32_e32 v34, 24, v23
	v_cmp_gt_u32_e64 s[0:1], s37, v30
	v_add_u32_e32 v30, 0xc3800000, v25
	v_add3_u32 v23, v23, v31, s38
	v_lshrrev_b32_e32 v35, 24, v27
	v_cndmask_b32_e64 v18, v18, v26, s[0:1]
	v_cmp_gt_u32_e64 s[0:1], s36, v16
	v_add_u32_e32 v16, 0xc3800000, v24
	v_add3_u32 v33, v27, v33, s38
	v_pk_add_f32 v[26:27], v[24:25], s[30:31] op_sel_hi:[1,0]
	v_cndmask_b32_e32 v19, v19, v32, vcc
	v_cmp_gt_u32_e32 vcc, s36, v17
	v_lshrrev_b32_e32 v17, 20, v23
	v_cmp_gt_u32_e64 s[2:3], s37, v30
	v_lshrrev_b32_e32 v23, 20, v33
	v_cndmask_b32_e32 v19, v22, v19, vcc
	v_cndmask_b32_e64 v18, v22, v18, s[0:1]
	v_cmp_gt_u32_e32 vcc, s37, v16
	v_cndmask_b32_e64 v17, v27, v17, s[2:3]
	v_cmp_gt_u32_e64 s[0:1], s36, v25
	v_cndmask_b32_e32 v16, v26, v23, vcc
	v_cmp_gt_u32_e32 vcc, s36, v24
	v_cndmask_b32_e64 v17, v22, v17, s[0:1]
	v_and_or_b32 v19, v28, s39, v19
	v_cndmask_b32_e32 v16, v22, v16, vcc
	v_and_or_b32 v17, v34, s39, v17
	v_and_or_b32 v18, v29, s39, v18
	v_lshlrev_b16_e32 v19, 8, v19
	v_and_or_b32 v16, v35, s39, v16
	v_lshlrev_b16_e32 v17, 8, v17
	v_or_b32_sdwa v18, v18, v19 dst_sel:DWORD dst_unused:UNUSED_PAD src0_sel:BYTE_0 src1_sel:DWORD
	v_or_b32_sdwa v16, v16, v17 dst_sel:WORD_1 dst_unused:UNUSED_PAD src0_sel:BYTE_0 src1_sel:DWORD
	s_nop 0
	v_or_b32_sdwa v16, v18, v16 dst_sel:DWORD dst_unused:UNUSED_PAD src0_sel:WORD_0 src1_sel:DWORD
	global_store_dword v[8:9], v16, off
	v_lshl_add_u64 v[8:9], v[8:9], 0, s[26:27]
	s_andn2_b64 exec, exec, s[28:29]
	s_cbranch_execnz .LBB4_63
; %bb.64:
	s_or_b64 exec, exec, s[28:29]
	v_mad_u64_u32 v[0:1], s[0:1], v4, s14, v[0:1]
	v_mov_b32_e32 v6, v1
	v_mad_u64_u32 v[6:7], s[0:1], v5, s14, v[6:7]
	v_cmp_ne_u64_e32 vcc, v[2:3], v[4:5]
	s_andn2_b64 s[0:1], s[16:17], exec
	s_and_b64 s[2:3], vcc, exec
	v_mov_b32_e32 v1, v6
	v_mov_b64_e32 v[4:5], s[24:25]
	v_mov_b64_e32 v[6:7], s[20:21]
	s_or_b64 s[16:17], s[0:1], s[2:3]
.LBB4_65:
	s_or_b64 exec, exec, s[18:19]
	s_and_b64 exec, exec, s[16:17]
	s_cbranch_execz .LBB4_74
; %bb.66:
	s_add_u32 s0, s8, s12
	s_addc_u32 s1, s9, s13
	v_lshl_add_u64 v[2:3], v[0:1], 1, s[10:11]
	s_lshl_b32 s2, s14, 1
	s_mov_b32 s3, 0
	s_mov_b64 s[4:5], 0
	s_movk_i32 s12, 0x7fff
	v_mov_b32_e32 v8, 0x7fc00000
	s_mov_b32 s13, 0x3fb8aa3b
	s_mov_b32 s16, 0xc2ce8ed0
	;; [unrolled: 1-line block ×3, first 2 shown]
	v_mov_b32_e32 v9, 0x7f800000
	s_mov_b32 s18, 0x43f00000
	s_mov_b32 s19, 0x3c7fffff
	;; [unrolled: 1-line block ×4, first 2 shown]
	s_movk_i32 s22, 0x80
	s_branch .LBB4_69
.LBB4_67:                               ;   in Loop: Header=BB4_69 Depth=1
	s_or_b64 exec, exec, s[10:11]
.LBB4_68:                               ;   in Loop: Header=BB4_69 Depth=1
	s_or_b64 exec, exec, s[8:9]
	v_lshrrev_b32_e32 v11, 24, v11
	v_and_or_b32 v11, v11, s22, v12
	v_lshl_add_u64 v[12:13], s[0:1], 0, v[0:1]
	v_lshl_add_u64 v[0:1], v[0:1], 0, s[14:15]
	v_cmp_le_i64_e32 vcc, s[6:7], v[0:1]
	s_or_b64 s[4:5], vcc, s[4:5]
	v_lshl_add_u64 v[2:3], v[2:3], 0, s[2:3]
	global_store_byte v[12:13], v11, off
	s_andn2_b64 exec, exec, s[4:5]
	s_cbranch_execz .LBB4_74
.LBB4_69:                               ; =>This Inner Loop Header: Depth=1
	v_lshl_add_u64 v[12:13], v[2:3], 0, v[6:7]
	global_load_ushort v11, v[12:13], off
	v_lshl_add_u64 v[12:13], v[2:3], 0, v[4:5]
	global_load_ushort v12, v[12:13], off
	s_waitcnt vmcnt(1)
	v_lshlrev_b32_e32 v11, 16, v11
	v_xor_b32_e32 v13, 0x80000000, v11
	v_bfe_u32 v14, v13, 16, 1
	v_add3_u32 v13, v13, v14, s12
	v_and_b32_e32 v13, 0xffff0000, v13
	v_cmp_o_f32_e32 vcc, v11, v11
	s_waitcnt vmcnt(0)
	v_lshlrev_b32_e32 v12, 16, v12
	v_cndmask_b32_e32 v13, v8, v13, vcc
	v_mul_f32_e32 v14, 0x3fb8aa3b, v13
	v_fma_f32 v15, v13, s13, -v14
	v_rndne_f32_e32 v16, v14
	v_fmac_f32_e32 v15, 0x32a5705f, v13
	v_sub_f32_e32 v14, v14, v16
	v_add_f32_e32 v14, v14, v15
	v_cvt_i32_f32_e32 v16, v16
	v_exp_f32_e32 v14, v14
	v_cmp_ngt_f32_e32 vcc, s16, v13
	v_ldexp_f32 v14, v14, v16
	s_nop 0
	v_cndmask_b32_e32 v14, 0, v14, vcc
	v_cmp_nlt_f32_e32 vcc, s17, v13
	s_nop 1
	v_cndmask_b32_e32 v13, v9, v14, vcc
	v_add_f32_e32 v13, 1.0, v13
	v_div_scale_f32 v14, s[8:9], v13, v13, v11
	v_rcp_f32_e32 v15, v14
	v_div_scale_f32 v16, vcc, v11, v13, v11
	v_fma_f32 v17, -v14, v15, 1.0
	v_fmac_f32_e32 v15, v17, v15
	v_mul_f32_e32 v17, v16, v15
	v_fma_f32 v18, -v14, v17, v16
	v_fmac_f32_e32 v17, v18, v15
	v_fma_f32 v14, -v14, v17, v16
	v_div_fmas_f32 v14, v14, v15, v17
	v_div_fixup_f32 v11, v14, v13, v11
	v_bfe_u32 v13, v11, 16, 1
	v_add3_u32 v13, v11, v13, s12
	v_and_b32_e32 v13, 0xffff0000, v13
	v_cmp_o_f32_e32 vcc, v11, v11
	s_nop 1
	v_cndmask_b32_e32 v11, v8, v13, vcc
	v_mul_f32_e32 v11, v11, v12
	v_bfe_u32 v12, v11, 16, 1
	v_add3_u32 v12, v11, v12, s12
	v_and_b32_e32 v12, 0xffff0000, v12
	v_cmp_o_f32_e32 vcc, v11, v11
	s_nop 1
	v_cndmask_b32_e32 v11, v8, v12, vcc
	v_mul_f32_e32 v11, v10, v11
	v_min_f32_e32 v11, 0x43e00000, v11
	v_max_f32_e32 v11, 0xc3e00000, v11
	v_and_b32_e32 v13, 0x7fffffff, v11
	v_cmp_gt_u32_e32 vcc, s18, v13
	v_mov_b32_e32 v12, 0x7f
	s_and_saveexec_b64 s[8:9], vcc
	s_cbranch_execz .LBB4_68
; %bb.70:                               ;   in Loop: Header=BB4_69 Depth=1
	v_cmp_lt_u32_e32 vcc, s19, v13
                                        ; implicit-def: $vgpr12
	s_and_saveexec_b64 s[10:11], vcc
	s_xor_b64 s[10:11], exec, s[10:11]
; %bb.71:                               ;   in Loop: Header=BB4_69 Depth=1
	v_bfe_u32 v12, v11, 20, 1
	v_add3_u32 v12, v11, v12, s20
	v_lshrrev_b32_e32 v12, 20, v12
; %bb.72:                               ;   in Loop: Header=BB4_69 Depth=1
	s_andn2_saveexec_b64 s[10:11], s[10:11]
	s_cbranch_execz .LBB4_67
; %bb.73:                               ;   in Loop: Header=BB4_69 Depth=1
	v_add_f32_e64 v12, |v11|, s21
	s_branch .LBB4_67
.LBB4_74:
	s_endpgm
	.section	.rodata,"a",@progbits
	.p2align	6, 0x0
	.amdhsa_kernel _ZN4vllm24act_and_mul_quant_kernelIN3c108BFloat16ETnPFT_RKS3_EXadL_ZNS_11silu_kernelIS2_EES3_S5_EENS1_13Float8_e4m3fnEEEvPT1_PS4_PKfi
		.amdhsa_group_segment_fixed_size 0
		.amdhsa_private_segment_fixed_size 0
		.amdhsa_kernarg_size 288
		.amdhsa_user_sgpr_count 2
		.amdhsa_user_sgpr_dispatch_ptr 0
		.amdhsa_user_sgpr_queue_ptr 0
		.amdhsa_user_sgpr_kernarg_segment_ptr 1
		.amdhsa_user_sgpr_dispatch_id 0
		.amdhsa_user_sgpr_kernarg_preload_length 0
		.amdhsa_user_sgpr_kernarg_preload_offset 0
		.amdhsa_user_sgpr_private_segment_size 0
		.amdhsa_uses_dynamic_stack 0
		.amdhsa_enable_private_segment 0
		.amdhsa_system_sgpr_workgroup_id_x 1
		.amdhsa_system_sgpr_workgroup_id_y 1
		.amdhsa_system_sgpr_workgroup_id_z 0
		.amdhsa_system_sgpr_workgroup_info 0
		.amdhsa_system_vgpr_workitem_id 0
		.amdhsa_next_free_vgpr 51
		.amdhsa_next_free_sgpr 42
		.amdhsa_accum_offset 52
		.amdhsa_reserve_vcc 1
		.amdhsa_float_round_mode_32 0
		.amdhsa_float_round_mode_16_64 0
		.amdhsa_float_denorm_mode_32 3
		.amdhsa_float_denorm_mode_16_64 3
		.amdhsa_dx10_clamp 1
		.amdhsa_ieee_mode 1
		.amdhsa_fp16_overflow 0
		.amdhsa_tg_split 0
		.amdhsa_exception_fp_ieee_invalid_op 0
		.amdhsa_exception_fp_denorm_src 0
		.amdhsa_exception_fp_ieee_div_zero 0
		.amdhsa_exception_fp_ieee_overflow 0
		.amdhsa_exception_fp_ieee_underflow 0
		.amdhsa_exception_fp_ieee_inexact 0
		.amdhsa_exception_int_div_zero 0
	.end_amdhsa_kernel
	.section	.text._ZN4vllm24act_and_mul_quant_kernelIN3c108BFloat16ETnPFT_RKS3_EXadL_ZNS_11silu_kernelIS2_EES3_S5_EENS1_13Float8_e4m3fnEEEvPT1_PS4_PKfi,"axG",@progbits,_ZN4vllm24act_and_mul_quant_kernelIN3c108BFloat16ETnPFT_RKS3_EXadL_ZNS_11silu_kernelIS2_EES3_S5_EENS1_13Float8_e4m3fnEEEvPT1_PS4_PKfi,comdat
.Lfunc_end4:
	.size	_ZN4vllm24act_and_mul_quant_kernelIN3c108BFloat16ETnPFT_RKS3_EXadL_ZNS_11silu_kernelIS2_EES3_S5_EENS1_13Float8_e4m3fnEEEvPT1_PS4_PKfi, .Lfunc_end4-_ZN4vllm24act_and_mul_quant_kernelIN3c108BFloat16ETnPFT_RKS3_EXadL_ZNS_11silu_kernelIS2_EES3_S5_EENS1_13Float8_e4m3fnEEEvPT1_PS4_PKfi
                                        ; -- End function
	.section	.AMDGPU.csdata,"",@progbits
; Kernel info:
; codeLenInByte = 7544
; NumSgprs: 48
; NumVgprs: 51
; NumAgprs: 0
; TotalNumVgprs: 51
; ScratchSize: 0
; MemoryBound: 0
; FloatMode: 240
; IeeeMode: 1
; LDSByteSize: 0 bytes/workgroup (compile time only)
; SGPRBlocks: 5
; VGPRBlocks: 6
; NumSGPRsForWavesPerEU: 48
; NumVGPRsForWavesPerEU: 51
; AccumOffset: 52
; Occupancy: 8
; WaveLimiterHint : 0
; COMPUTE_PGM_RSRC2:SCRATCH_EN: 0
; COMPUTE_PGM_RSRC2:USER_SGPR: 2
; COMPUTE_PGM_RSRC2:TRAP_HANDLER: 0
; COMPUTE_PGM_RSRC2:TGID_X_EN: 1
; COMPUTE_PGM_RSRC2:TGID_Y_EN: 1
; COMPUTE_PGM_RSRC2:TGID_Z_EN: 0
; COMPUTE_PGM_RSRC2:TIDIG_COMP_CNT: 0
; COMPUTE_PGM_RSRC3_GFX90A:ACCUM_OFFSET: 12
; COMPUTE_PGM_RSRC3_GFX90A:TG_SPLIT: 0
	.section	.text._ZN4vllm24act_and_mul_quant_kernelIN3c108BFloat16ETnPFT_RKS3_EXadL_ZNS_11silu_kernelIS2_EES3_S5_EENS1_15Float8_e4m3fnuzEEEvPT1_PS4_PKfi,"axG",@progbits,_ZN4vllm24act_and_mul_quant_kernelIN3c108BFloat16ETnPFT_RKS3_EXadL_ZNS_11silu_kernelIS2_EES3_S5_EENS1_15Float8_e4m3fnuzEEEvPT1_PS4_PKfi,comdat
	.protected	_ZN4vllm24act_and_mul_quant_kernelIN3c108BFloat16ETnPFT_RKS3_EXadL_ZNS_11silu_kernelIS2_EES3_S5_EENS1_15Float8_e4m3fnuzEEEvPT1_PS4_PKfi ; -- Begin function _ZN4vllm24act_and_mul_quant_kernelIN3c108BFloat16ETnPFT_RKS3_EXadL_ZNS_11silu_kernelIS2_EES3_S5_EENS1_15Float8_e4m3fnuzEEEvPT1_PS4_PKfi
	.globl	_ZN4vllm24act_and_mul_quant_kernelIN3c108BFloat16ETnPFT_RKS3_EXadL_ZNS_11silu_kernelIS2_EES3_S5_EENS1_15Float8_e4m3fnuzEEEvPT1_PS4_PKfi
	.p2align	8
	.type	_ZN4vllm24act_and_mul_quant_kernelIN3c108BFloat16ETnPFT_RKS3_EXadL_ZNS_11silu_kernelIS2_EES3_S5_EENS1_15Float8_e4m3fnuzEEEvPT1_PS4_PKfi,@function
_ZN4vllm24act_and_mul_quant_kernelIN3c108BFloat16ETnPFT_RKS3_EXadL_ZNS_11silu_kernelIS2_EES3_S5_EENS1_15Float8_e4m3fnuzEEEvPT1_PS4_PKfi: ; @_ZN4vllm24act_and_mul_quant_kernelIN3c108BFloat16ETnPFT_RKS3_EXadL_ZNS_11silu_kernelIS2_EES3_S5_EENS1_15Float8_e4m3fnuzEEEvPT1_PS4_PKfi
; %bb.0:
	s_mov_b32 s4, s3
	s_load_dword s3, s[0:1], 0x24
	s_load_dword s33, s[0:1], 0x18
	s_add_u32 s22, s0, 32
	s_addc_u32 s23, s1, 0
	s_load_dwordx2 s[24:25], s[0:1], 0x0
	s_waitcnt lgkmcnt(0)
	s_abs_i32 s5, s3
	v_cvt_f32_u32_e32 v1, s5
	s_sub_i32 s7, 0, s5
	s_add_i32 s6, s33, s3
	s_add_i32 s6, s6, -1
	v_rcp_iflag_f32_e32 v1, v1
	s_xor_b32 s3, s6, s3
	s_abs_i32 s6, s6
	s_ashr_i32 s3, s3, 31
	v_mul_f32_e32 v1, 0x4f7ffffe, v1
	v_cvt_u32_f32_e32 v1, v1
	s_nop 0
	v_readfirstlane_b32 s8, v1
	s_mul_i32 s7, s7, s8
	s_mul_hi_u32 s7, s8, s7
	s_add_i32 s8, s8, s7
	s_mul_hi_u32 s7, s6, s8
	s_mul_i32 s8, s7, s5
	s_sub_i32 s6, s6, s8
	s_add_i32 s8, s7, 1
	s_sub_i32 s9, s6, s5
	s_cmp_ge_u32 s6, s5
	s_cselect_b32 s7, s8, s7
	s_cselect_b32 s6, s9, s6
	s_add_i32 s8, s7, 1
	s_cmp_ge_u32 s6, s5
	s_cselect_b32 s5, s8, s7
	s_xor_b32 s5, s5, s3
	s_sub_i32 s5, s5, s3
	s_and_b32 s3, s5, 7
	s_cmp_eq_u32 s3, 0
	s_mov_b32 s3, 0
	s_cbranch_scc1 .LBB5_2
; %bb.1:
	s_ashr_i32 s6, s5, 31
	s_lshr_b32 s6, s6, 29
	s_add_i32 s5, s5, s6
	s_and_b32 s5, s5, -8
	s_add_i32 s5, s5, 8
.LBB5_2:
	s_mul_i32 s4, s5, s4
	s_add_i32 s5, s4, s5
	s_min_i32 s20, s5, s33
	s_abs_i32 s5, s20
	v_cvt_f32_u32_e32 v1, s5
	s_ashr_i32 s40, s33, 31
	s_load_dwordx4 s[16:19], s[0:1], 0x8
	s_mul_hi_u32 s0, s33, s2
	v_rcp_iflag_f32_e32 v1, v1
	s_mul_i32 s1, s40, s2
	s_add_i32 s27, s0, s1
	s_sub_i32 s0, 0, s5
	v_mul_f32_e32 v1, 0x4f7ffffe, v1
	v_cvt_u32_f32_e32 v1, v1
	s_waitcnt lgkmcnt(0)
	s_load_dword s6, s[18:19], 0x0
	s_mul_i32 s26, s33, s2
	v_readfirstlane_b32 s1, v1
	s_mul_i32 s0, s0, s1
	s_mul_hi_u32 s0, s1, s0
	s_add_i32 s1, s1, s0
	s_lshr_b32 s0, s1, 29
	s_mul_i32 s0, s0, s5
	s_sub_i32 s0, 8, s0
	s_sub_i32 s1, s0, s5
	s_cmp_ge_u32 s0, s5
	s_cselect_b32 s0, s1, s0
	s_sub_i32 s1, s0, s5
	s_cmp_ge_u32 s0, s5
	s_cselect_b32 s21, s1, s0
	s_cmp_eq_u32 s21, 0
	s_cselect_b64 s[0:1], -1, 0
	v_cndmask_b32_e64 v15, 0, 1, s[0:1]
	s_waitcnt lgkmcnt(0)
	v_div_scale_f32 v1, s[0:1], s6, s6, 1.0
	v_rcp_f32_e32 v2, v1
	s_ashr_i32 s5, s4, 31
	s_lshr_b32 s0, s5, 29
	s_add_i32 s4, s4, s0
	v_fma_f32 v3, -v1, v2, 1.0
	v_fmac_f32_e32 v2, v3, v2
	v_div_scale_f32 v3, vcc, 1.0, s6, 1.0
	v_mul_f32_e32 v4, v3, v2
	v_fma_f32 v5, -v1, v4, v3
	v_fmac_f32_e32 v4, v5, v2
	s_ashr_i32 s0, s4, 3
	v_fma_f32 v1, -v1, v4, v3
	v_div_fmas_f32 v1, v1, v2, v4
	v_add_u32_e32 v16, s0, v0
	v_div_fixup_f32 v14, v1, s6, 1.0
	v_cmp_lt_i32_e32 vcc, v16, v15
	s_and_saveexec_b64 s[18:19], vcc
	s_cbranch_execz .LBB5_5
; %bb.3:
	s_load_dword s4, s[22:23], 0xc
	s_ashr_i32 s1, s0, 31
	v_mov_b32_e32 v1, 0
	v_lshl_add_u64 v[2:3], s[0:1], 0, v[0:1]
	s_lshl_b64 s[0:1], s[2:3], 2
	s_or_b32 s0, s0, 2
	s_waitcnt lgkmcnt(0)
	s_and_b32 s41, s4, 0xffff
	s_mul_i32 s4, s0, s40
	s_mul_hi_u32 s5, s0, s33
	s_add_i32 s4, s5, s4
	s_mul_i32 s1, s1, s33
	s_lshl_b64 s[28:29], s[26:27], 2
	s_lshl_b32 s30, s41, 4
	s_add_i32 s35, s4, s1
	s_mul_i32 s34, s0, s33
	s_add_u32 s0, s24, s26
	s_mov_b32 s31, 0
	s_addc_u32 s1, s25, s27
	v_lshl_add_u64 v[10:11], v[2:3], 4, s[16:17]
	v_lshl_add_u64 v[12:13], v[2:3], 3, s[0:1]
	s_lshl_b32 s36, s41, 3
	s_mov_b32 s37, s31
	s_mov_b64 s[38:39], 0
	s_movk_i32 s42, 0x7fff
	v_mov_b32_e32 v1, 0x7fc00000
	s_mov_b32 s43, 0x3fb8aa3b
	s_mov_b32 s44, 0xc2ce8ed0
	;; [unrolled: 1-line block ×4, first 2 shown]
	v_mov_b32_e32 v17, 0x7f800000
	s_mov_b32 s47, 0x43700000
	v_mov_b32_e32 v18, 0xc3700000
	s_mov_b32 s48, 0x4020c0c
	v_mov_b32_e32 v19, 8
.LBB5_4:                                ; =>This Inner Loop Header: Depth=1
	v_lshl_add_u64 v[22:23], v[10:11], 0, s[28:29]
	v_lshl_add_u64 v[24:25], v[10:11], 0, s[34:35]
	global_load_dwordx4 v[6:9], v[22:23], off
	global_load_dwordx4 v[2:5], v[24:25], off
	v_add_u32_e32 v16, s41, v16
	v_mov_b32_e32 v20, 0
	v_mov_b32_e32 v21, 0
	v_lshl_add_u64 v[10:11], v[10:11], 0, s[30:31]
	s_waitcnt vmcnt(1)
	v_lshlrev_b32_e32 v25, 16, v6
	v_xor_b32_e32 v30, 0x80000000, v25
	v_and_b32_e32 v24, 0xffff0000, v6
	v_lshlrev_b32_e32 v6, 16, v7
	v_bfe_u32 v38, v30, 16, 1
	v_xor_b32_e32 v31, 0x80000000, v24
	v_xor_b32_e32 v32, 0x80000000, v6
	v_add3_u32 v30, v30, v38, s42
	v_bfe_u32 v39, v31, 16, 1
	v_bfe_u32 v40, v32, 16, 1
	v_and_b32_e32 v30, 0xffff0000, v30
	v_cmp_o_f32_e64 s[14:15], v25, v25
	v_add3_u32 v31, v31, v39, s42
	v_add3_u32 v32, v32, v40, s42
	v_cndmask_b32_e64 v30, v1, v30, s[14:15]
	v_and_b32_e32 v31, 0xffff0000, v31
	v_cmp_o_f32_e32 vcc, v24, v24
	v_and_b32_e32 v32, 0xffff0000, v32
	v_cmp_o_f32_e64 s[0:1], v6, v6
	v_mul_f32_e32 v38, 0x3fb8aa3b, v30
	v_and_b32_e32 v7, 0xffff0000, v7
	v_lshlrev_b32_e32 v27, 16, v8
	v_and_b32_e32 v8, 0xffff0000, v8
	v_lshlrev_b32_e32 v29, 16, v9
	v_and_b32_e32 v9, 0xffff0000, v9
	v_cndmask_b32_e32 v31, v1, v31, vcc
	v_cndmask_b32_e64 v32, v1, v32, s[0:1]
	v_fma_f32 v46, v30, s43, -v38
	v_rndne_f32_e32 v47, v38
	v_xor_b32_e32 v33, 0x80000000, v7
	v_xor_b32_e32 v34, 0x80000000, v27
	;; [unrolled: 1-line block ×5, first 2 shown]
	v_mul_f32_e32 v39, 0x3fb8aa3b, v31
	v_mul_f32_e32 v40, 0x3fb8aa3b, v32
	v_fmac_f32_e32 v46, 0x32a5705f, v30
	v_sub_f32_e32 v38, v38, v47
	v_bfe_u32 v41, v33, 16, 1
	v_bfe_u32 v42, v34, 16, 1
	;; [unrolled: 1-line block ×5, first 2 shown]
	v_fma_f32 v48, v31, s43, -v39
	v_rndne_f32_e32 v49, v39
	v_fma_f32 v50, v32, s43, -v40
	v_rndne_f32_e32 v51, v40
	v_add_f32_e32 v38, v38, v46
	v_add3_u32 v33, v33, v41, s42
	v_add3_u32 v34, v34, v42, s42
	;; [unrolled: 1-line block ×5, first 2 shown]
	v_cvt_i32_f32_e32 v47, v47
	v_fmac_f32_e32 v48, 0x32a5705f, v31
	v_sub_f32_e32 v39, v39, v49
	v_fmac_f32_e32 v50, 0x32a5705f, v32
	v_sub_f32_e32 v40, v40, v51
	v_exp_f32_e32 v38, v38
	v_and_b32_e32 v33, 0xffff0000, v33
	v_cmp_o_f32_e64 s[4:5], v7, v7
	v_and_b32_e32 v34, 0xffff0000, v34
	v_cmp_o_f32_e64 s[6:7], v27, v27
	;; [unrolled: 2-line block ×5, first 2 shown]
	v_add_f32_e32 v39, v39, v48
	v_add_f32_e32 v40, v40, v50
	v_cndmask_b32_e64 v33, v1, v33, s[4:5]
	v_cndmask_b32_e64 v34, v1, v34, s[6:7]
	;; [unrolled: 1-line block ×5, first 2 shown]
	v_cvt_i32_f32_e32 v49, v49
	v_cvt_i32_f32_e32 v51, v51
	v_exp_f32_e32 v39, v39
	v_exp_f32_e32 v40, v40
	v_mul_f32_e32 v41, 0x3fb8aa3b, v33
	v_mul_f32_e32 v42, 0x3fb8aa3b, v34
	;; [unrolled: 1-line block ×5, first 2 shown]
	v_fma_f32 v52, v33, s43, -v41
	v_rndne_f32_e32 v53, v41
	v_fma_f32 v54, v34, s43, -v42
	v_rndne_f32_e32 v55, v42
	;; [unrolled: 2-line block ×5, first 2 shown]
	v_ldexp_f32 v38, v38, v47
	v_cmp_ngt_f32_e64 s[14:15], s44, v30
	v_fmac_f32_e32 v52, 0x32a5705f, v33
	v_sub_f32_e32 v41, v41, v53
	v_fmac_f32_e32 v54, 0x32a5705f, v34
	v_sub_f32_e32 v42, v42, v55
	;; [unrolled: 2-line block ×5, first 2 shown]
	v_cndmask_b32_e64 v38, 0, v38, s[14:15]
	v_cmp_nlt_f32_e64 s[14:15], s45, v30
	v_add_f32_e32 v41, v41, v52
	v_add_f32_e32 v42, v42, v54
	;; [unrolled: 1-line block ×5, first 2 shown]
	v_ldexp_f32 v39, v39, v49
	v_cmp_ngt_f32_e32 vcc, s44, v31
	v_ldexp_f32 v40, v40, v51
	v_cmp_ngt_f32_e64 s[0:1], s44, v32
	v_cndmask_b32_e64 v30, v17, v38, s[14:15]
	v_cvt_i32_f32_e32 v53, v53
	v_cvt_i32_f32_e32 v55, v55
	v_cvt_i32_f32_e32 v57, v57
	v_cvt_i32_f32_e32 v59, v59
	v_cvt_i32_f32_e32 v46, v46
	v_exp_f32_e32 v41, v41
	v_exp_f32_e32 v42, v42
	;; [unrolled: 1-line block ×5, first 2 shown]
	v_cndmask_b32_e32 v39, 0, v39, vcc
	v_cmp_nlt_f32_e32 vcc, s45, v31
	v_cndmask_b32_e64 v31, 0, v40, s[0:1]
	v_cmp_nlt_f32_e64 s[0:1], s45, v32
	v_add_f32_e32 v30, 1.0, v30
	v_ldexp_f32 v41, v41, v53
	v_cndmask_b32_e64 v31, v17, v31, s[0:1]
	v_div_scale_f32 v38, s[0:1], v30, v30, v25
	v_rcp_f32_e32 v54, v38
	v_cmp_ngt_f32_e64 s[4:5], s44, v33
	v_ldexp_f32 v42, v42, v55
	v_cmp_ngt_f32_e64 s[6:7], s44, v34
	v_ldexp_f32 v43, v43, v57
	;; [unrolled: 2-line block ×4, first 2 shown]
	v_cmp_ngt_f32_e64 s[12:13], s44, v37
	v_cndmask_b32_e64 v32, 0, v41, s[4:5]
	v_cmp_nlt_f32_e64 s[4:5], s45, v33
	v_cndmask_b32_e64 v33, 0, v42, s[6:7]
	v_cmp_nlt_f32_e64 s[6:7], s45, v34
	;; [unrolled: 2-line block ×5, first 2 shown]
	v_cndmask_b32_e32 v37, v17, v39, vcc
	v_add_f32_e32 v37, 1.0, v37
	v_fma_f32 v59, -v38, v54, 1.0
	v_cndmask_b32_e64 v32, v17, v32, s[4:5]
	v_add_f32_e32 v31, 1.0, v31
	v_div_scale_f32 v39, vcc, v25, v30, v25
	v_div_scale_f32 v40, s[0:1], v37, v37, v24
	v_fmac_f32_e32 v54, v59, v54
	v_cndmask_b32_e64 v33, v17, v33, s[6:7]
	v_add_f32_e32 v32, 1.0, v32
	v_div_scale_f32 v42, s[0:1], v31, v31, v6
	v_rcp_f32_e32 v55, v40
	v_mul_f32_e32 v59, v39, v54
	v_cndmask_b32_e64 v34, v17, v34, s[8:9]
	v_add_f32_e32 v33, 1.0, v33
	v_div_scale_f32 v44, s[0:1], v32, v32, v7
	v_rcp_f32_e32 v56, v42
	v_fma_f32 v60, -v38, v59, v39
	v_cndmask_b32_e64 v35, v17, v35, s[10:11]
	v_add_f32_e32 v34, 1.0, v34
	v_div_scale_f32 v46, s[0:1], v33, v33, v27
	v_rcp_f32_e32 v57, v44
	v_fmac_f32_e32 v59, v60, v54
	v_cndmask_b32_e64 v36, v17, v36, s[12:13]
	v_add_f32_e32 v35, 1.0, v35
	v_div_scale_f32 v48, s[0:1], v34, v34, v8
	v_rcp_f32_e32 v58, v46
	v_fma_f32 v38, -v38, v59, v39
	v_add_f32_e32 v36, 1.0, v36
	v_div_scale_f32 v50, s[0:1], v35, v35, v29
	v_rcp_f32_e32 v60, v48
	v_div_fmas_f32 v38, v38, v54, v59
	v_fma_f32 v59, -v40, v55, 1.0
	v_div_scale_f32 v52, s[0:1], v36, v36, v9
	v_rcp_f32_e32 v39, v50
	v_fmac_f32_e32 v55, v59, v55
	v_fma_f32 v59, -v42, v56, 1.0
	v_rcp_f32_e32 v54, v52
	v_fmac_f32_e32 v56, v59, v56
	v_fma_f32 v59, -v44, v57, 1.0
	v_fmac_f32_e32 v57, v59, v57
	v_fma_f32 v59, -v46, v58, 1.0
	;; [unrolled: 2-line block ×4, first 2 shown]
	v_div_scale_f32 v41, s[14:15], v24, v37, v24
	v_fmac_f32_e32 v39, v59, v39
	v_fma_f32 v59, -v52, v54, 1.0
	v_fmac_f32_e32 v54, v59, v54
	v_mul_f32_e32 v59, v41, v55
	v_div_fixup_f32 v25, v38, v30, v25
	v_fma_f32 v38, -v40, v59, v41
	v_fmac_f32_e32 v59, v38, v55
	v_div_scale_f32 v43, s[12:13], v6, v31, v6
	v_fma_f32 v40, -v40, v59, v41
	s_mov_b64 vcc, s[14:15]
	v_div_scale_f32 v45, s[10:11], v7, v32, v7
	v_mul_f32_e32 v30, v43, v56
	v_div_fmas_f32 v40, v40, v55, v59
	v_div_scale_f32 v47, s[8:9], v27, v33, v27
	v_mul_f32_e32 v38, v45, v57
	v_div_fixup_f32 v24, v40, v37, v24
	v_fma_f32 v40, -v42, v30, v43
	v_div_scale_f32 v49, s[6:7], v8, v34, v8
	v_mul_f32_e32 v41, v47, v58
	v_fmac_f32_e32 v30, v40, v56
	v_fma_f32 v40, -v44, v38, v45
	v_div_scale_f32 v51, s[4:5], v29, v35, v29
	v_mul_f32_e32 v55, v49, v60
	v_fmac_f32_e32 v38, v40, v57
	v_fma_f32 v40, -v46, v41, v47
	v_div_scale_f32 v53, s[0:1], v9, v36, v9
	v_mul_f32_e32 v59, v51, v39
	v_fmac_f32_e32 v41, v40, v58
	v_fma_f32 v40, -v48, v55, v49
	v_mul_f32_e32 v37, v53, v54
	v_fmac_f32_e32 v55, v40, v60
	v_fma_f32 v40, -v50, v59, v51
	v_fmac_f32_e32 v59, v40, v39
	v_fma_f32 v40, -v52, v37, v53
	v_cmp_ge_i32_e32 vcc, v16, v15
	v_fmac_f32_e32 v37, v40, v54
	v_fma_f32 v42, -v42, v30, v43
	s_or_b64 s[38:39], vcc, s[38:39]
	s_mov_b64 vcc, s[12:13]
	v_fma_f32 v44, -v44, v38, v45
	v_fma_f32 v52, -v52, v37, v53
	v_bfe_u32 v53, v25, 16, 1
	v_div_fmas_f32 v30, v42, v56, v30
	s_mov_b64 vcc, s[10:11]
	v_fma_f32 v46, -v46, v41, v47
	v_add3_u32 v42, v25, v53, s42
	v_div_fixup_f32 v6, v30, v31, v6
	v_div_fmas_f32 v30, v44, v57, v38
	s_mov_b64 vcc, s[8:9]
	v_bfe_u32 v53, v24, 16, 1
	v_and_b32_e32 v31, 0xffff0000, v42
	v_div_fixup_f32 v7, v30, v32, v7
	v_div_fmas_f32 v30, v46, v58, v41
	v_cmp_o_f32_e32 vcc, v25, v25
	v_fma_f32 v48, -v48, v55, v49
	v_add3_u32 v38, v24, v53, s42
	v_cndmask_b32_e32 v25, v1, v31, vcc
	s_mov_b64 vcc, s[6:7]
	v_bfe_u32 v42, v6, 16, 1
	v_and_b32_e32 v31, 0xffff0000, v38
	v_div_fixup_f32 v27, v30, v33, v27
	v_div_fmas_f32 v30, v48, v60, v55
	v_cmp_o_f32_e32 vcc, v24, v24
	s_waitcnt vmcnt(0)
	v_lshlrev_b32_e32 v22, 16, v2
	v_fma_f32 v50, -v50, v59, v51
	v_add3_u32 v32, v6, v42, s42
	v_cndmask_b32_e32 v24, v1, v31, vcc
	s_mov_b64 vcc, s[4:5]
	v_and_b32_e32 v2, 0xffff0000, v2
	v_bfe_u32 v38, v7, 16, 1
	v_mul_f32_e32 v22, v25, v22
	v_and_b32_e32 v25, 0xffff0000, v32
	v_div_fixup_f32 v8, v30, v34, v8
	v_div_fmas_f32 v30, v50, v39, v59
	v_cmp_o_f32_e32 vcc, v6, v6
	v_add3_u32 v31, v7, v38, s42
	v_bfe_u32 v32, v27, 16, 1
	v_mul_f32_e32 v2, v24, v2
	v_cndmask_b32_e32 v24, v1, v25, vcc
	s_mov_b64 vcc, s[0:1]
	v_lshlrev_b32_e32 v23, 16, v3
	v_bfe_u32 v6, v22, 16, 1
	v_and_b32_e32 v25, 0xffff0000, v31
	v_add3_u32 v31, v27, v32, s42
	v_bfe_u32 v32, v8, 16, 1
	v_div_fixup_f32 v29, v30, v35, v29
	v_div_fmas_f32 v30, v52, v54, v37
	v_cmp_o_f32_e32 vcc, v7, v7
	v_and_b32_e32 v3, 0xffff0000, v3
	v_add3_u32 v6, v22, v6, s42
	v_bfe_u32 v7, v2, 16, 1
	v_mul_f32_e32 v23, v24, v23
	v_cndmask_b32_e32 v24, v1, v25, vcc
	v_and_b32_e32 v25, 0xffff0000, v31
	v_add3_u32 v31, v8, v32, s42
	v_bfe_u32 v32, v29, 16, 1
	v_div_fixup_f32 v9, v30, v36, v9
	v_cmp_o_f32_e32 vcc, v27, v27
	v_lshlrev_b32_e32 v26, 16, v4
	v_and_b32_e32 v6, 0xffff0000, v6
	v_add3_u32 v7, v2, v7, s42
	v_bfe_u32 v27, v23, 16, 1
	v_mul_f32_e32 v3, v24, v3
	v_cndmask_b32_e32 v24, v1, v25, vcc
	v_and_b32_e32 v25, 0xffff0000, v31
	v_cmp_o_f32_e32 vcc, v8, v8
	v_add3_u32 v8, v29, v32, s42
	v_bfe_u32 v30, v9, 16, 1
	v_cmp_o_f32_e64 s[0:1], v22, v22
	v_and_b32_e32 v4, 0xffff0000, v4
	v_and_b32_e32 v7, 0xffff0000, v7
	v_cndmask_b32_e64 v6, v1, v6, s[0:1]
	v_add3_u32 v22, v23, v27, s42
	v_bfe_u32 v27, v3, 16, 1
	v_mul_f32_e32 v24, v24, v26
	v_cndmask_b32_e32 v25, v1, v25, vcc
	v_and_b32_e32 v8, 0xffff0000, v8
	v_cmp_o_f32_e32 vcc, v29, v29
	v_add3_u32 v26, v9, v30, s42
	v_cmp_o_f32_e64 s[0:1], v2, v2
	v_lshlrev_b32_e32 v28, 16, v5
	v_mul_f32_e32 v2, v14, v6
	v_cndmask_b32_e64 v6, v1, v7, s[0:1]
	v_and_b32_e32 v7, 0xffff0000, v22
	v_add3_u32 v22, v3, v27, s42
	v_bfe_u32 v27, v24, 16, 1
	v_mul_f32_e32 v4, v25, v4
	v_cndmask_b32_e32 v8, v1, v8, vcc
	v_and_b32_e32 v25, 0xffff0000, v26
	v_cmp_o_f32_e32 vcc, v9, v9
	v_cmp_o_f32_e64 s[0:1], v23, v23
	v_and_b32_e32 v5, 0xffff0000, v5
	v_min_f32_e32 v2, 0x43600000, v2
	v_mul_f32_e32 v6, v14, v6
	v_cndmask_b32_e64 v7, v1, v7, s[0:1]
	v_and_b32_e32 v9, 0xffff0000, v22
	v_add3_u32 v22, v24, v27, s42
	v_bfe_u32 v23, v4, 16, 1
	v_mul_f32_e32 v8, v8, v28
	v_cndmask_b32_e32 v25, v1, v25, vcc
	v_cmp_o_f32_e32 vcc, v3, v3
	v_max_f32_e32 v2, 0xc3600000, v2
	v_min_f32_e32 v3, 0x43600000, v6
	v_mul_f32_e32 v6, v14, v7
	v_cndmask_b32_e32 v7, v1, v9, vcc
	v_and_b32_e32 v9, 0xffff0000, v22
	v_add3_u32 v22, v4, v23, s42
	v_bfe_u32 v23, v8, 16, 1
	v_mul_f32_e32 v5, v25, v5
	v_cmp_o_f32_e32 vcc, v24, v24
	v_med3_f32 v24, v2, s47, v18
	v_max_f32_e32 v3, 0xc3600000, v3
	v_min_f32_e32 v6, 0x43600000, v6
	v_mul_f32_e32 v7, v14, v7
	v_cndmask_b32_e32 v9, v1, v9, vcc
	v_and_b32_e32 v22, 0xffff0000, v22
	v_cmp_o_f32_e32 vcc, v4, v4
	v_add3_u32 v4, v8, v23, s42
	v_bfe_u32 v23, v5, 16, 1
	v_cmp_nlg_f32_e64 s[0:1], |v2|, s46
	v_max_f32_e32 v6, 0xc3600000, v6
	v_min_f32_e32 v7, 0x43600000, v7
	v_cndmask_b32_e64 v2, v24, v2, s[0:1]
	v_med3_f32 v24, v3, s47, v18
	v_mul_f32_e32 v9, v14, v9
	v_cndmask_b32_e32 v22, v1, v22, vcc
	v_and_b32_e32 v4, 0xffff0000, v4
	v_cmp_o_f32_e32 vcc, v8, v8
	v_add3_u32 v8, v5, v23, s42
	v_cmp_nlg_f32_e64 s[0:1], |v3|, s46
	v_cvt_pk_fp8_f32 v20, v2, v2
	v_max_f32_e32 v7, 0xc3600000, v7
	v_cndmask_b32_e64 v2, v24, v3, s[0:1]
	v_med3_f32 v3, v6, s47, v18
	v_min_f32_e32 v9, 0x43600000, v9
	v_mul_f32_e32 v22, v14, v22
	v_cndmask_b32_e32 v4, v1, v4, vcc
	v_and_b32_e32 v8, 0xffff0000, v8
	v_cmp_o_f32_e32 vcc, v5, v5
	v_cmp_nlg_f32_e64 s[0:1], |v6|, s46
	v_mov_b32_e32 v40, 0
	v_cvt_pk_fp8_f32 v21, v2, v2
	v_cndmask_b32_e64 v2, v3, v6, s[0:1]
	v_med3_f32 v3, v7, s47, v18
	v_max_f32_e32 v5, 0xc3600000, v9
	v_min_f32_e32 v6, 0x43600000, v22
	v_mul_f32_e32 v4, v14, v4
	v_cndmask_b32_e32 v8, v1, v8, vcc
	v_cmp_nlg_f32_e64 vcc, |v7|, s46
	v_mov_b32_e32 v43, 0
	v_cvt_pk_fp8_f32 v40, v2, v2
	v_cndmask_b32_e32 v2, v3, v7, vcc
	v_med3_f32 v3, v5, s47, v18
	v_max_f32_e32 v6, 0xc3600000, v6
	v_min_f32_e32 v4, 0x43600000, v4
	v_mul_f32_e32 v7, v14, v8
	v_cmp_nlg_f32_e64 vcc, |v5|, s46
	v_mov_b32_e32 v45, 0
	v_cvt_pk_fp8_f32 v43, v2, v2
	v_cndmask_b32_e32 v2, v3, v5, vcc
	v_med3_f32 v3, v6, s47, v18
	v_max_f32_e32 v4, 0xc3600000, v4
	v_min_f32_e32 v5, 0x43600000, v7
	v_cmp_nlg_f32_e64 vcc, |v6|, s46
	v_mov_b32_e32 v47, 0
	v_cvt_pk_fp8_f32 v45, v2, v2
	v_cndmask_b32_e32 v2, v3, v6, vcc
	v_med3_f32 v3, v4, s47, v18
	v_max_f32_e32 v5, 0xc3600000, v5
	v_cmp_nlg_f32_e64 vcc, |v4|, s46
	v_mov_b32_e32 v49, 0
	v_cvt_pk_fp8_f32 v47, v2, v2
	v_cndmask_b32_e32 v2, v3, v4, vcc
	v_med3_f32 v3, v5, s47, v18
	v_cmp_nlg_f32_e64 vcc, |v5|, s46
	v_mov_b32_e32 v51, 0
	v_cvt_pk_fp8_f32 v49, v2, v2
	v_cndmask_b32_e32 v2, v3, v5, vcc
	v_cvt_pk_fp8_f32 v51, v2, v2
	v_lshlrev_b32_e32 v4, 8, v21
	v_lshlrev_b32_e32 v3, 16, v40
	v_and_b32_e32 v6, 0xff, v20
	v_and_b32_e32 v4, 0xff00, v4
	v_perm_b32 v2, v43, v3, s48
	v_and_b32_e32 v5, 0xff, v49
	v_or3_b32 v2, v2, v4, v6
	v_lshlrev_b32_e32 v6, 24, v51
	v_lshlrev_b32_e32 v5, 16, v5
	v_and_b32_e32 v3, 0xff, v45
	v_lshlrev_b32_sdwa v4, v19, v47 dst_sel:DWORD dst_unused:UNUSED_PAD src0_sel:DWORD src1_sel:BYTE_0
	v_or_b32_e32 v5, v6, v5
	v_or3_b32 v3, v5, v4, v3
	global_store_dwordx2 v[12:13], v[2:3], off
	v_lshl_add_u64 v[12:13], v[12:13], 0, s[36:37]
	s_andn2_b64 exec, exec, s[38:39]
	s_cbranch_execnz .LBB5_4
.LBB5_5:
	s_or_b64 exec, exec, s[18:19]
	s_sub_i32 s0, 8, s21
	s_cmp_gt_i32 s20, s0
	s_cbranch_scc0 .LBB5_9
; %bb.6:
	v_add_u32_e32 v0, s0, v0
	v_cmp_gt_i32_e32 vcc, s20, v0
	s_and_saveexec_b64 s[0:1], vcc
	s_cbranch_execz .LBB5_9
; %bb.7:
	s_ashr_i32 s21, s20, 31
	s_load_dword s4, s[22:23], 0xc
	s_add_u32 s0, s24, s26
	s_addc_u32 s1, s25, s27
	s_lshl_b64 s[2:3], s[2:3], 2
	s_or_b32 s2, s2, 2
	v_mov_b32_e32 v1, 0
	s_mul_i32 s6, s2, s40
	s_mul_hi_u32 s7, s2, s33
	s_mov_b32 s5, 0
	s_waitcnt lgkmcnt(0)
	s_and_b32 s4, s4, 0xffff
	s_add_i32 s6, s7, s6
	s_mul_i32 s3, s3, s33
	v_lshlrev_b32_e32 v2, 1, v0
	v_mov_b32_e32 v3, v1
	s_add_i32 s3, s6, s3
	s_mul_i32 s2, s2, s33
	v_lshl_add_u64 v[2:3], s[16:17], 0, v[2:3]
	s_lshl_b32 s6, s4, 1
	s_mov_b32 s7, s5
	s_lshl_b64 s[8:9], s[26:27], 2
	s_mov_b64 s[10:11], 0
	s_movk_i32 s12, 0x7fff
	v_mov_b32_e32 v4, 0x7fc00000
	s_mov_b32 s13, 0x3fb8aa3b
	s_mov_b32 s14, 0xc2ce8ed0
	s_mov_b32 s15, 0x42b17218
	s_mov_b32 s16, 0x7f800000
	v_mov_b32_e32 v5, 0x7f800000
	s_mov_b32 s17, 0x43700000
	v_mov_b32_e32 v6, 0xc3700000
.LBB5_8:                                ; =>This Inner Loop Header: Depth=1
	v_lshl_add_u64 v[8:9], v[2:3], 0, s[8:9]
	v_lshl_add_u64 v[10:11], v[2:3], 0, s[2:3]
	global_load_ushort v7, v[8:9], off
	global_load_ushort v12, v[10:11], off
	v_mov_b32_e32 v10, 0
	v_lshl_add_u64 v[8:9], s[0:1], 0, v[0:1]
	v_lshl_add_u64 v[0:1], v[0:1], 0, s[4:5]
	;; [unrolled: 1-line block ×3, first 2 shown]
	s_waitcnt vmcnt(1)
	v_lshlrev_b32_e32 v7, 16, v7
	s_waitcnt vmcnt(0)
	v_lshlrev_b32_e32 v11, 16, v12
	v_xor_b32_e32 v12, 0x80000000, v7
	v_bfe_u32 v13, v12, 16, 1
	v_add3_u32 v12, v12, v13, s12
	v_and_b32_e32 v12, 0xffff0000, v12
	v_cmp_o_f32_e32 vcc, v7, v7
	s_nop 1
	v_cndmask_b32_e32 v12, v4, v12, vcc
	v_mul_f32_e32 v13, 0x3fb8aa3b, v12
	v_fma_f32 v15, v12, s13, -v13
	v_rndne_f32_e32 v16, v13
	v_fmac_f32_e32 v15, 0x32a5705f, v12
	v_sub_f32_e32 v13, v13, v16
	v_add_f32_e32 v13, v13, v15
	v_cvt_i32_f32_e32 v16, v16
	v_exp_f32_e32 v13, v13
	v_cmp_ngt_f32_e32 vcc, s14, v12
	v_ldexp_f32 v13, v13, v16
	s_nop 0
	v_cndmask_b32_e32 v13, 0, v13, vcc
	v_cmp_nlt_f32_e32 vcc, s15, v12
	s_nop 1
	v_cndmask_b32_e32 v12, v5, v13, vcc
	v_add_f32_e32 v12, 1.0, v12
	v_div_scale_f32 v13, s[18:19], v12, v12, v7
	v_rcp_f32_e32 v16, v13
	v_div_scale_f32 v15, vcc, v7, v12, v7
	v_fma_f32 v17, -v13, v16, 1.0
	v_fmac_f32_e32 v16, v17, v16
	v_mul_f32_e32 v17, v15, v16
	v_fma_f32 v18, -v13, v17, v15
	v_fmac_f32_e32 v17, v18, v16
	v_fma_f32 v13, -v13, v17, v15
	v_div_fmas_f32 v13, v13, v16, v17
	v_div_fixup_f32 v7, v13, v12, v7
	v_bfe_u32 v12, v7, 16, 1
	v_add3_u32 v12, v7, v12, s12
	v_and_b32_e32 v12, 0xffff0000, v12
	v_cmp_o_f32_e32 vcc, v7, v7
	s_nop 1
	v_cndmask_b32_e32 v7, v4, v12, vcc
	v_mul_f32_e32 v7, v7, v11
	v_bfe_u32 v11, v7, 16, 1
	v_add3_u32 v11, v7, v11, s12
	v_and_b32_e32 v11, 0xffff0000, v11
	v_cmp_o_f32_e32 vcc, v7, v7
	s_nop 1
	v_cndmask_b32_e32 v7, v4, v11, vcc
	v_mul_f32_e32 v7, v14, v7
	v_min_f32_e32 v7, 0x43600000, v7
	v_max_f32_e32 v7, 0xc3600000, v7
	v_med3_f32 v11, v7, s17, v6
	v_cmp_nlg_f32_e64 vcc, |v7|, s16
	s_nop 1
	v_cndmask_b32_e32 v7, v11, v7, vcc
	v_cvt_pk_fp8_f32 v10, v7, v7
	v_cmp_le_i64_e32 vcc, s[20:21], v[0:1]
	s_or_b64 s[10:11], vcc, s[10:11]
	global_store_byte v[8:9], v10, off
	s_andn2_b64 exec, exec, s[10:11]
	s_cbranch_execnz .LBB5_8
.LBB5_9:
	s_endpgm
	.section	.rodata,"a",@progbits
	.p2align	6, 0x0
	.amdhsa_kernel _ZN4vllm24act_and_mul_quant_kernelIN3c108BFloat16ETnPFT_RKS3_EXadL_ZNS_11silu_kernelIS2_EES3_S5_EENS1_15Float8_e4m3fnuzEEEvPT1_PS4_PKfi
		.amdhsa_group_segment_fixed_size 0
		.amdhsa_private_segment_fixed_size 0
		.amdhsa_kernarg_size 288
		.amdhsa_user_sgpr_count 2
		.amdhsa_user_sgpr_dispatch_ptr 0
		.amdhsa_user_sgpr_queue_ptr 0
		.amdhsa_user_sgpr_kernarg_segment_ptr 1
		.amdhsa_user_sgpr_dispatch_id 0
		.amdhsa_user_sgpr_kernarg_preload_length 0
		.amdhsa_user_sgpr_kernarg_preload_offset 0
		.amdhsa_user_sgpr_private_segment_size 0
		.amdhsa_uses_dynamic_stack 0
		.amdhsa_enable_private_segment 0
		.amdhsa_system_sgpr_workgroup_id_x 1
		.amdhsa_system_sgpr_workgroup_id_y 1
		.amdhsa_system_sgpr_workgroup_id_z 0
		.amdhsa_system_sgpr_workgroup_info 0
		.amdhsa_system_vgpr_workitem_id 0
		.amdhsa_next_free_vgpr 61
		.amdhsa_next_free_sgpr 49
		.amdhsa_accum_offset 64
		.amdhsa_reserve_vcc 1
		.amdhsa_float_round_mode_32 0
		.amdhsa_float_round_mode_16_64 0
		.amdhsa_float_denorm_mode_32 3
		.amdhsa_float_denorm_mode_16_64 3
		.amdhsa_dx10_clamp 1
		.amdhsa_ieee_mode 1
		.amdhsa_fp16_overflow 0
		.amdhsa_tg_split 0
		.amdhsa_exception_fp_ieee_invalid_op 0
		.amdhsa_exception_fp_denorm_src 0
		.amdhsa_exception_fp_ieee_div_zero 0
		.amdhsa_exception_fp_ieee_overflow 0
		.amdhsa_exception_fp_ieee_underflow 0
		.amdhsa_exception_fp_ieee_inexact 0
		.amdhsa_exception_int_div_zero 0
	.end_amdhsa_kernel
	.section	.text._ZN4vllm24act_and_mul_quant_kernelIN3c108BFloat16ETnPFT_RKS3_EXadL_ZNS_11silu_kernelIS2_EES3_S5_EENS1_15Float8_e4m3fnuzEEEvPT1_PS4_PKfi,"axG",@progbits,_ZN4vllm24act_and_mul_quant_kernelIN3c108BFloat16ETnPFT_RKS3_EXadL_ZNS_11silu_kernelIS2_EES3_S5_EENS1_15Float8_e4m3fnuzEEEvPT1_PS4_PKfi,comdat
.Lfunc_end5:
	.size	_ZN4vllm24act_and_mul_quant_kernelIN3c108BFloat16ETnPFT_RKS3_EXadL_ZNS_11silu_kernelIS2_EES3_S5_EENS1_15Float8_e4m3fnuzEEEvPT1_PS4_PKfi, .Lfunc_end5-_ZN4vllm24act_and_mul_quant_kernelIN3c108BFloat16ETnPFT_RKS3_EXadL_ZNS_11silu_kernelIS2_EES3_S5_EENS1_15Float8_e4m3fnuzEEEvPT1_PS4_PKfi
                                        ; -- End function
	.section	.AMDGPU.csdata,"",@progbits
; Kernel info:
; codeLenInByte = 4208
; NumSgprs: 55
; NumVgprs: 61
; NumAgprs: 0
; TotalNumVgprs: 61
; ScratchSize: 0
; MemoryBound: 0
; FloatMode: 240
; IeeeMode: 1
; LDSByteSize: 0 bytes/workgroup (compile time only)
; SGPRBlocks: 6
; VGPRBlocks: 7
; NumSGPRsForWavesPerEU: 55
; NumVGPRsForWavesPerEU: 61
; AccumOffset: 64
; Occupancy: 8
; WaveLimiterHint : 0
; COMPUTE_PGM_RSRC2:SCRATCH_EN: 0
; COMPUTE_PGM_RSRC2:USER_SGPR: 2
; COMPUTE_PGM_RSRC2:TRAP_HANDLER: 0
; COMPUTE_PGM_RSRC2:TGID_X_EN: 1
; COMPUTE_PGM_RSRC2:TGID_Y_EN: 1
; COMPUTE_PGM_RSRC2:TGID_Z_EN: 0
; COMPUTE_PGM_RSRC2:TIDIG_COMP_CNT: 0
; COMPUTE_PGM_RSRC3_GFX90A:ACCUM_OFFSET: 15
; COMPUTE_PGM_RSRC3_GFX90A:TG_SPLIT: 0
	.text
	.p2alignl 6, 3212836864
	.fill 256, 4, 3212836864
	.type	__hip_cuid_d06e450d3a6f2fdb,@object ; @__hip_cuid_d06e450d3a6f2fdb
	.section	.bss,"aw",@nobits
	.globl	__hip_cuid_d06e450d3a6f2fdb
__hip_cuid_d06e450d3a6f2fdb:
	.byte	0                               ; 0x0
	.size	__hip_cuid_d06e450d3a6f2fdb, 1

	.ident	"AMD clang version 19.0.0git (https://github.com/RadeonOpenCompute/llvm-project roc-6.4.0 25133 c7fe45cf4b819c5991fe208aaa96edf142730f1d)"
	.section	".note.GNU-stack","",@progbits
	.addrsig
	.addrsig_sym __hip_cuid_d06e450d3a6f2fdb
	.amdgpu_metadata
---
amdhsa.kernels:
  - .agpr_count:     0
    .args:
      - .actual_access:  write_only
        .address_space:  global
        .offset:         0
        .size:           8
        .value_kind:     global_buffer
      - .actual_access:  read_only
        .address_space:  global
        .offset:         8
        .size:           8
        .value_kind:     global_buffer
      - .address_space:  global
        .offset:         16
        .size:           8
        .value_kind:     global_buffer
      - .offset:         24
        .size:           4
        .value_kind:     by_value
      - .offset:         32
        .size:           4
        .value_kind:     hidden_block_count_x
      - .offset:         36
        .size:           4
        .value_kind:     hidden_block_count_y
      - .offset:         40
        .size:           4
        .value_kind:     hidden_block_count_z
      - .offset:         44
        .size:           2
        .value_kind:     hidden_group_size_x
      - .offset:         46
        .size:           2
        .value_kind:     hidden_group_size_y
      - .offset:         48
        .size:           2
        .value_kind:     hidden_group_size_z
      - .offset:         50
        .size:           2
        .value_kind:     hidden_remainder_x
      - .offset:         52
        .size:           2
        .value_kind:     hidden_remainder_y
      - .offset:         54
        .size:           2
        .value_kind:     hidden_remainder_z
      - .offset:         72
        .size:           8
        .value_kind:     hidden_global_offset_x
      - .offset:         80
        .size:           8
        .value_kind:     hidden_global_offset_y
      - .offset:         88
        .size:           8
        .value_kind:     hidden_global_offset_z
      - .offset:         96
        .size:           2
        .value_kind:     hidden_grid_dims
    .group_segment_fixed_size: 0
    .kernarg_segment_align: 8
    .kernarg_segment_size: 288
    .language:       OpenCL C
    .language_version:
      - 2
      - 0
    .max_flat_workgroup_size: 1024
    .name:           _ZN4vllm24act_and_mul_quant_kernelIfTnPFT_RKS1_EXadL_ZNS_11silu_kernelIfEES1_S3_EEN3c1013Float8_e4m3fnEEEvPT1_PS2_PKfi
    .private_segment_fixed_size: 0
    .sgpr_count:     47
    .sgpr_spill_count: 0
    .symbol:         _ZN4vllm24act_and_mul_quant_kernelIfTnPFT_RKS1_EXadL_ZNS_11silu_kernelIfEES1_S3_EEN3c1013Float8_e4m3fnEEEvPT1_PS2_PKfi.kd
    .uniform_work_group_size: 1
    .uses_dynamic_stack: false
    .vgpr_count:     32
    .vgpr_spill_count: 0
    .wavefront_size: 64
  - .agpr_count:     0
    .args:
      - .actual_access:  write_only
        .address_space:  global
        .offset:         0
        .size:           8
        .value_kind:     global_buffer
      - .actual_access:  read_only
        .address_space:  global
        .offset:         8
        .size:           8
        .value_kind:     global_buffer
      - .address_space:  global
        .offset:         16
        .size:           8
        .value_kind:     global_buffer
      - .offset:         24
        .size:           4
        .value_kind:     by_value
      - .offset:         32
        .size:           4
        .value_kind:     hidden_block_count_x
      - .offset:         36
        .size:           4
        .value_kind:     hidden_block_count_y
      - .offset:         40
        .size:           4
        .value_kind:     hidden_block_count_z
      - .offset:         44
        .size:           2
        .value_kind:     hidden_group_size_x
      - .offset:         46
        .size:           2
        .value_kind:     hidden_group_size_y
      - .offset:         48
        .size:           2
        .value_kind:     hidden_group_size_z
      - .offset:         50
        .size:           2
        .value_kind:     hidden_remainder_x
      - .offset:         52
        .size:           2
        .value_kind:     hidden_remainder_y
      - .offset:         54
        .size:           2
        .value_kind:     hidden_remainder_z
      - .offset:         72
        .size:           8
        .value_kind:     hidden_global_offset_x
      - .offset:         80
        .size:           8
        .value_kind:     hidden_global_offset_y
      - .offset:         88
        .size:           8
        .value_kind:     hidden_global_offset_z
      - .offset:         96
        .size:           2
        .value_kind:     hidden_grid_dims
    .group_segment_fixed_size: 0
    .kernarg_segment_align: 8
    .kernarg_segment_size: 288
    .language:       OpenCL C
    .language_version:
      - 2
      - 0
    .max_flat_workgroup_size: 1024
    .name:           _ZN4vllm24act_and_mul_quant_kernelIfTnPFT_RKS1_EXadL_ZNS_11silu_kernelIfEES1_S3_EEN3c1015Float8_e4m3fnuzEEEvPT1_PS2_PKfi
    .private_segment_fixed_size: 0
    .sgpr_count:     46
    .sgpr_spill_count: 0
    .symbol:         _ZN4vllm24act_and_mul_quant_kernelIfTnPFT_RKS1_EXadL_ZNS_11silu_kernelIfEES1_S3_EEN3c1015Float8_e4m3fnuzEEEvPT1_PS2_PKfi.kd
    .uniform_work_group_size: 1
    .uses_dynamic_stack: false
    .vgpr_count:     47
    .vgpr_spill_count: 0
    .wavefront_size: 64
  - .agpr_count:     0
    .args:
      - .actual_access:  write_only
        .address_space:  global
        .offset:         0
        .size:           8
        .value_kind:     global_buffer
      - .actual_access:  read_only
        .address_space:  global
        .offset:         8
        .size:           8
        .value_kind:     global_buffer
      - .address_space:  global
        .offset:         16
        .size:           8
        .value_kind:     global_buffer
      - .offset:         24
        .size:           4
        .value_kind:     by_value
      - .offset:         32
        .size:           4
        .value_kind:     hidden_block_count_x
      - .offset:         36
        .size:           4
        .value_kind:     hidden_block_count_y
      - .offset:         40
        .size:           4
        .value_kind:     hidden_block_count_z
      - .offset:         44
        .size:           2
        .value_kind:     hidden_group_size_x
      - .offset:         46
        .size:           2
        .value_kind:     hidden_group_size_y
      - .offset:         48
        .size:           2
        .value_kind:     hidden_group_size_z
      - .offset:         50
        .size:           2
        .value_kind:     hidden_remainder_x
      - .offset:         52
        .size:           2
        .value_kind:     hidden_remainder_y
      - .offset:         54
        .size:           2
        .value_kind:     hidden_remainder_z
      - .offset:         72
        .size:           8
        .value_kind:     hidden_global_offset_x
      - .offset:         80
        .size:           8
        .value_kind:     hidden_global_offset_y
      - .offset:         88
        .size:           8
        .value_kind:     hidden_global_offset_z
      - .offset:         96
        .size:           2
        .value_kind:     hidden_grid_dims
    .group_segment_fixed_size: 0
    .kernarg_segment_align: 8
    .kernarg_segment_size: 288
    .language:       OpenCL C
    .language_version:
      - 2
      - 0
    .max_flat_workgroup_size: 1024
    .name:           _ZN4vllm24act_and_mul_quant_kernelIN3c104HalfETnPFT_RKS3_EXadL_ZNS_11silu_kernelIS2_EES3_S5_EENS1_13Float8_e4m3fnEEEvPT1_PS4_PKfi
    .private_segment_fixed_size: 0
    .sgpr_count:     48
    .sgpr_spill_count: 0
    .symbol:         _ZN4vllm24act_and_mul_quant_kernelIN3c104HalfETnPFT_RKS3_EXadL_ZNS_11silu_kernelIS2_EES3_S5_EENS1_13Float8_e4m3fnEEEvPT1_PS4_PKfi.kd
    .uniform_work_group_size: 1
    .uses_dynamic_stack: false
    .vgpr_count:     48
    .vgpr_spill_count: 0
    .wavefront_size: 64
  - .agpr_count:     0
    .args:
      - .actual_access:  write_only
        .address_space:  global
        .offset:         0
        .size:           8
        .value_kind:     global_buffer
      - .actual_access:  read_only
        .address_space:  global
        .offset:         8
        .size:           8
        .value_kind:     global_buffer
      - .address_space:  global
        .offset:         16
        .size:           8
        .value_kind:     global_buffer
      - .offset:         24
        .size:           4
        .value_kind:     by_value
      - .offset:         32
        .size:           4
        .value_kind:     hidden_block_count_x
      - .offset:         36
        .size:           4
        .value_kind:     hidden_block_count_y
      - .offset:         40
        .size:           4
        .value_kind:     hidden_block_count_z
      - .offset:         44
        .size:           2
        .value_kind:     hidden_group_size_x
      - .offset:         46
        .size:           2
        .value_kind:     hidden_group_size_y
      - .offset:         48
        .size:           2
        .value_kind:     hidden_group_size_z
      - .offset:         50
        .size:           2
        .value_kind:     hidden_remainder_x
      - .offset:         52
        .size:           2
        .value_kind:     hidden_remainder_y
      - .offset:         54
        .size:           2
        .value_kind:     hidden_remainder_z
      - .offset:         72
        .size:           8
        .value_kind:     hidden_global_offset_x
      - .offset:         80
        .size:           8
        .value_kind:     hidden_global_offset_y
      - .offset:         88
        .size:           8
        .value_kind:     hidden_global_offset_z
      - .offset:         96
        .size:           2
        .value_kind:     hidden_grid_dims
    .group_segment_fixed_size: 0
    .kernarg_segment_align: 8
    .kernarg_segment_size: 288
    .language:       OpenCL C
    .language_version:
      - 2
      - 0
    .max_flat_workgroup_size: 1024
    .name:           _ZN4vllm24act_and_mul_quant_kernelIN3c104HalfETnPFT_RKS3_EXadL_ZNS_11silu_kernelIS2_EES3_S5_EENS1_15Float8_e4m3fnuzEEEvPT1_PS4_PKfi
    .private_segment_fixed_size: 0
    .sgpr_count:     55
    .sgpr_spill_count: 0
    .symbol:         _ZN4vllm24act_and_mul_quant_kernelIN3c104HalfETnPFT_RKS3_EXadL_ZNS_11silu_kernelIS2_EES3_S5_EENS1_15Float8_e4m3fnuzEEEvPT1_PS4_PKfi.kd
    .uniform_work_group_size: 1
    .uses_dynamic_stack: false
    .vgpr_count:     61
    .vgpr_spill_count: 0
    .wavefront_size: 64
  - .agpr_count:     0
    .args:
      - .actual_access:  write_only
        .address_space:  global
        .offset:         0
        .size:           8
        .value_kind:     global_buffer
      - .actual_access:  read_only
        .address_space:  global
        .offset:         8
        .size:           8
        .value_kind:     global_buffer
      - .address_space:  global
        .offset:         16
        .size:           8
        .value_kind:     global_buffer
      - .offset:         24
        .size:           4
        .value_kind:     by_value
      - .offset:         32
        .size:           4
        .value_kind:     hidden_block_count_x
      - .offset:         36
        .size:           4
        .value_kind:     hidden_block_count_y
      - .offset:         40
        .size:           4
        .value_kind:     hidden_block_count_z
      - .offset:         44
        .size:           2
        .value_kind:     hidden_group_size_x
      - .offset:         46
        .size:           2
        .value_kind:     hidden_group_size_y
      - .offset:         48
        .size:           2
        .value_kind:     hidden_group_size_z
      - .offset:         50
        .size:           2
        .value_kind:     hidden_remainder_x
      - .offset:         52
        .size:           2
        .value_kind:     hidden_remainder_y
      - .offset:         54
        .size:           2
        .value_kind:     hidden_remainder_z
      - .offset:         72
        .size:           8
        .value_kind:     hidden_global_offset_x
      - .offset:         80
        .size:           8
        .value_kind:     hidden_global_offset_y
      - .offset:         88
        .size:           8
        .value_kind:     hidden_global_offset_z
      - .offset:         96
        .size:           2
        .value_kind:     hidden_grid_dims
    .group_segment_fixed_size: 0
    .kernarg_segment_align: 8
    .kernarg_segment_size: 288
    .language:       OpenCL C
    .language_version:
      - 2
      - 0
    .max_flat_workgroup_size: 1024
    .name:           _ZN4vllm24act_and_mul_quant_kernelIN3c108BFloat16ETnPFT_RKS3_EXadL_ZNS_11silu_kernelIS2_EES3_S5_EENS1_13Float8_e4m3fnEEEvPT1_PS4_PKfi
    .private_segment_fixed_size: 0
    .sgpr_count:     48
    .sgpr_spill_count: 0
    .symbol:         _ZN4vllm24act_and_mul_quant_kernelIN3c108BFloat16ETnPFT_RKS3_EXadL_ZNS_11silu_kernelIS2_EES3_S5_EENS1_13Float8_e4m3fnEEEvPT1_PS4_PKfi.kd
    .uniform_work_group_size: 1
    .uses_dynamic_stack: false
    .vgpr_count:     51
    .vgpr_spill_count: 0
    .wavefront_size: 64
  - .agpr_count:     0
    .args:
      - .actual_access:  write_only
        .address_space:  global
        .offset:         0
        .size:           8
        .value_kind:     global_buffer
      - .actual_access:  read_only
        .address_space:  global
        .offset:         8
        .size:           8
        .value_kind:     global_buffer
      - .address_space:  global
        .offset:         16
        .size:           8
        .value_kind:     global_buffer
      - .offset:         24
        .size:           4
        .value_kind:     by_value
      - .offset:         32
        .size:           4
        .value_kind:     hidden_block_count_x
      - .offset:         36
        .size:           4
        .value_kind:     hidden_block_count_y
      - .offset:         40
        .size:           4
        .value_kind:     hidden_block_count_z
      - .offset:         44
        .size:           2
        .value_kind:     hidden_group_size_x
      - .offset:         46
        .size:           2
        .value_kind:     hidden_group_size_y
      - .offset:         48
        .size:           2
        .value_kind:     hidden_group_size_z
      - .offset:         50
        .size:           2
        .value_kind:     hidden_remainder_x
      - .offset:         52
        .size:           2
        .value_kind:     hidden_remainder_y
      - .offset:         54
        .size:           2
        .value_kind:     hidden_remainder_z
      - .offset:         72
        .size:           8
        .value_kind:     hidden_global_offset_x
      - .offset:         80
        .size:           8
        .value_kind:     hidden_global_offset_y
      - .offset:         88
        .size:           8
        .value_kind:     hidden_global_offset_z
      - .offset:         96
        .size:           2
        .value_kind:     hidden_grid_dims
    .group_segment_fixed_size: 0
    .kernarg_segment_align: 8
    .kernarg_segment_size: 288
    .language:       OpenCL C
    .language_version:
      - 2
      - 0
    .max_flat_workgroup_size: 1024
    .name:           _ZN4vllm24act_and_mul_quant_kernelIN3c108BFloat16ETnPFT_RKS3_EXadL_ZNS_11silu_kernelIS2_EES3_S5_EENS1_15Float8_e4m3fnuzEEEvPT1_PS4_PKfi
    .private_segment_fixed_size: 0
    .sgpr_count:     55
    .sgpr_spill_count: 0
    .symbol:         _ZN4vllm24act_and_mul_quant_kernelIN3c108BFloat16ETnPFT_RKS3_EXadL_ZNS_11silu_kernelIS2_EES3_S5_EENS1_15Float8_e4m3fnuzEEEvPT1_PS4_PKfi.kd
    .uniform_work_group_size: 1
    .uses_dynamic_stack: false
    .vgpr_count:     61
    .vgpr_spill_count: 0
    .wavefront_size: 64
amdhsa.target:   amdgcn-amd-amdhsa--gfx942
amdhsa.version:
  - 1
  - 2
...

	.end_amdgpu_metadata
